;; amdgpu-corpus repo=ROCm/rocFFT kind=compiled arch=gfx950 opt=O3
	.text
	.amdgcn_target "amdgcn-amd-amdhsa--gfx950"
	.amdhsa_code_object_version 6
	.protected	fft_rtc_fwd_len1428_factors_17_2_7_6_wgs_119_tpt_119_halfLds_sp_op_CI_CI_unitstride_sbrr_C2R_dirReg ; -- Begin function fft_rtc_fwd_len1428_factors_17_2_7_6_wgs_119_tpt_119_halfLds_sp_op_CI_CI_unitstride_sbrr_C2R_dirReg
	.globl	fft_rtc_fwd_len1428_factors_17_2_7_6_wgs_119_tpt_119_halfLds_sp_op_CI_CI_unitstride_sbrr_C2R_dirReg
	.p2align	8
	.type	fft_rtc_fwd_len1428_factors_17_2_7_6_wgs_119_tpt_119_halfLds_sp_op_CI_CI_unitstride_sbrr_C2R_dirReg,@function
fft_rtc_fwd_len1428_factors_17_2_7_6_wgs_119_tpt_119_halfLds_sp_op_CI_CI_unitstride_sbrr_C2R_dirReg: ; @fft_rtc_fwd_len1428_factors_17_2_7_6_wgs_119_tpt_119_halfLds_sp_op_CI_CI_unitstride_sbrr_C2R_dirReg
; %bb.0:
	s_load_dwordx4 s[4:7], s[0:1], 0x58
	s_load_dwordx4 s[8:11], s[0:1], 0x0
	;; [unrolled: 1-line block ×3, first 2 shown]
	v_mul_u32_u24_e32 v1, 0x227, v0
	v_add_u32_sdwa v6, s2, v1 dst_sel:DWORD dst_unused:UNUSED_PAD src0_sel:DWORD src1_sel:WORD_1
	v_mov_b32_e32 v4, 0
	s_waitcnt lgkmcnt(0)
	v_cmp_lt_u64_e64 s[2:3], s[10:11], 2
	v_mov_b32_e32 v7, v4
	s_and_b64 vcc, exec, s[2:3]
	v_mov_b64_e32 v[2:3], 0
	s_cbranch_vccnz .LBB0_8
; %bb.1:
	s_load_dwordx2 s[2:3], s[0:1], 0x10
	s_add_u32 s16, s14, 8
	s_addc_u32 s17, s15, 0
	s_add_u32 s18, s12, 8
	s_addc_u32 s19, s13, 0
	s_waitcnt lgkmcnt(0)
	s_add_u32 s20, s2, 8
	v_mov_b64_e32 v[2:3], 0
	s_addc_u32 s21, s3, 0
	s_mov_b64 s[22:23], 1
	v_mov_b64_e32 v[36:37], v[2:3]
.LBB0_2:                                ; =>This Inner Loop Header: Depth=1
	s_load_dwordx2 s[24:25], s[20:21], 0x0
                                        ; implicit-def: $vgpr38_vgpr39
	s_waitcnt lgkmcnt(0)
	v_or_b32_e32 v5, s25, v7
	v_cmp_ne_u64_e32 vcc, 0, v[4:5]
	s_and_saveexec_b64 s[2:3], vcc
	s_xor_b64 s[26:27], exec, s[2:3]
	s_cbranch_execz .LBB0_4
; %bb.3:                                ;   in Loop: Header=BB0_2 Depth=1
	v_cvt_f32_u32_e32 v1, s24
	v_cvt_f32_u32_e32 v5, s25
	s_sub_u32 s2, 0, s24
	s_subb_u32 s3, 0, s25
	v_fmac_f32_e32 v1, 0x4f800000, v5
	v_rcp_f32_e32 v1, v1
	s_nop 0
	v_mul_f32_e32 v1, 0x5f7ffffc, v1
	v_mul_f32_e32 v5, 0x2f800000, v1
	v_trunc_f32_e32 v5, v5
	v_fmac_f32_e32 v1, 0xcf800000, v5
	v_cvt_u32_f32_e32 v5, v5
	v_cvt_u32_f32_e32 v1, v1
	v_mul_lo_u32 v8, s2, v5
	v_mul_hi_u32 v10, s2, v1
	v_mul_lo_u32 v9, s3, v1
	v_add_u32_e32 v10, v10, v8
	v_mul_lo_u32 v12, s2, v1
	v_add_u32_e32 v13, v10, v9
	v_mul_hi_u32 v8, v1, v12
	v_mul_hi_u32 v11, v1, v13
	v_mul_lo_u32 v10, v1, v13
	v_mov_b32_e32 v9, v4
	v_lshl_add_u64 v[8:9], v[8:9], 0, v[10:11]
	v_mul_hi_u32 v11, v5, v12
	v_mul_lo_u32 v12, v5, v12
	v_add_co_u32_e32 v8, vcc, v8, v12
	v_mul_hi_u32 v10, v5, v13
	s_nop 0
	v_addc_co_u32_e32 v8, vcc, v9, v11, vcc
	v_mov_b32_e32 v9, v4
	s_nop 0
	v_addc_co_u32_e32 v11, vcc, 0, v10, vcc
	v_mul_lo_u32 v10, v5, v13
	v_lshl_add_u64 v[8:9], v[8:9], 0, v[10:11]
	v_add_co_u32_e32 v1, vcc, v1, v8
	v_mul_lo_u32 v10, s2, v1
	s_nop 0
	v_addc_co_u32_e32 v5, vcc, v5, v9, vcc
	v_mul_lo_u32 v8, s2, v5
	v_mul_hi_u32 v9, s2, v1
	v_add_u32_e32 v8, v9, v8
	v_mul_lo_u32 v9, s3, v1
	v_add_u32_e32 v12, v8, v9
	v_mul_hi_u32 v14, v5, v10
	v_mul_lo_u32 v15, v5, v10
	v_mul_hi_u32 v9, v1, v12
	v_mul_lo_u32 v8, v1, v12
	v_mul_hi_u32 v10, v1, v10
	v_mov_b32_e32 v11, v4
	v_lshl_add_u64 v[8:9], v[10:11], 0, v[8:9]
	v_add_co_u32_e32 v8, vcc, v8, v15
	v_mul_hi_u32 v13, v5, v12
	s_nop 0
	v_addc_co_u32_e32 v8, vcc, v9, v14, vcc
	v_mul_lo_u32 v10, v5, v12
	s_nop 0
	v_addc_co_u32_e32 v11, vcc, 0, v13, vcc
	v_mov_b32_e32 v9, v4
	v_lshl_add_u64 v[8:9], v[8:9], 0, v[10:11]
	v_add_co_u32_e32 v1, vcc, v1, v8
	v_mul_hi_u32 v10, v6, v1
	s_nop 0
	v_addc_co_u32_e32 v5, vcc, v5, v9, vcc
	v_mad_u64_u32 v[8:9], s[2:3], v6, v5, 0
	v_mov_b32_e32 v11, v4
	v_lshl_add_u64 v[8:9], v[10:11], 0, v[8:9]
	v_mad_u64_u32 v[12:13], s[2:3], v7, v1, 0
	v_add_co_u32_e32 v1, vcc, v8, v12
	v_mad_u64_u32 v[10:11], s[2:3], v7, v5, 0
	s_nop 0
	v_addc_co_u32_e32 v8, vcc, v9, v13, vcc
	v_mov_b32_e32 v9, v4
	s_nop 0
	v_addc_co_u32_e32 v11, vcc, 0, v11, vcc
	v_lshl_add_u64 v[8:9], v[8:9], 0, v[10:11]
	v_mul_lo_u32 v1, s25, v8
	v_mul_lo_u32 v5, s24, v9
	v_mad_u64_u32 v[10:11], s[2:3], s24, v8, 0
	v_add3_u32 v1, v11, v5, v1
	v_sub_u32_e32 v5, v7, v1
	v_mov_b32_e32 v11, s25
	v_sub_co_u32_e32 v14, vcc, v6, v10
	v_lshl_add_u64 v[12:13], v[8:9], 0, 1
	s_nop 0
	v_subb_co_u32_e64 v5, s[2:3], v5, v11, vcc
	v_subrev_co_u32_e64 v10, s[2:3], s24, v14
	v_subb_co_u32_e32 v1, vcc, v7, v1, vcc
	s_nop 0
	v_subbrev_co_u32_e64 v5, s[2:3], 0, v5, s[2:3]
	v_cmp_le_u32_e64 s[2:3], s25, v5
	v_cmp_le_u32_e32 vcc, s25, v1
	s_nop 0
	v_cndmask_b32_e64 v11, 0, -1, s[2:3]
	v_cmp_le_u32_e64 s[2:3], s24, v10
	s_nop 1
	v_cndmask_b32_e64 v10, 0, -1, s[2:3]
	v_cmp_eq_u32_e64 s[2:3], s25, v5
	s_nop 1
	v_cndmask_b32_e64 v5, v11, v10, s[2:3]
	v_lshl_add_u64 v[10:11], v[8:9], 0, 2
	v_cmp_ne_u32_e64 s[2:3], 0, v5
	s_nop 1
	v_cndmask_b32_e64 v5, v13, v11, s[2:3]
	v_cndmask_b32_e64 v11, 0, -1, vcc
	v_cmp_le_u32_e32 vcc, s24, v14
	s_nop 1
	v_cndmask_b32_e64 v13, 0, -1, vcc
	v_cmp_eq_u32_e32 vcc, s25, v1
	s_nop 1
	v_cndmask_b32_e32 v1, v11, v13, vcc
	v_cmp_ne_u32_e32 vcc, 0, v1
	v_cndmask_b32_e64 v1, v12, v10, s[2:3]
	s_nop 0
	v_cndmask_b32_e32 v39, v9, v5, vcc
	v_cndmask_b32_e32 v38, v8, v1, vcc
.LBB0_4:                                ;   in Loop: Header=BB0_2 Depth=1
	s_andn2_saveexec_b64 s[2:3], s[26:27]
	s_cbranch_execz .LBB0_6
; %bb.5:                                ;   in Loop: Header=BB0_2 Depth=1
	v_cvt_f32_u32_e32 v1, s24
	s_sub_i32 s26, 0, s24
	v_mov_b32_e32 v39, v4
	v_rcp_iflag_f32_e32 v1, v1
	s_nop 0
	v_mul_f32_e32 v1, 0x4f7ffffe, v1
	v_cvt_u32_f32_e32 v1, v1
	v_mul_lo_u32 v5, s26, v1
	v_mul_hi_u32 v5, v1, v5
	v_add_u32_e32 v1, v1, v5
	v_mul_hi_u32 v1, v6, v1
	v_mul_lo_u32 v5, v1, s24
	v_sub_u32_e32 v5, v6, v5
	v_add_u32_e32 v8, 1, v1
	v_subrev_u32_e32 v9, s24, v5
	v_cmp_le_u32_e32 vcc, s24, v5
	s_nop 1
	v_cndmask_b32_e32 v5, v5, v9, vcc
	v_cndmask_b32_e32 v1, v1, v8, vcc
	v_add_u32_e32 v8, 1, v1
	v_cmp_le_u32_e32 vcc, s24, v5
	s_nop 1
	v_cndmask_b32_e32 v38, v1, v8, vcc
.LBB0_6:                                ;   in Loop: Header=BB0_2 Depth=1
	s_or_b64 exec, exec, s[2:3]
	v_mad_u64_u32 v[8:9], s[2:3], v38, s24, 0
	s_load_dwordx2 s[2:3], s[18:19], 0x0
	v_mul_lo_u32 v1, v39, s24
	v_mul_lo_u32 v5, v38, s25
	s_load_dwordx2 s[24:25], s[16:17], 0x0
	s_add_u32 s22, s22, 1
	v_add3_u32 v1, v9, v5, v1
	v_sub_co_u32_e32 v5, vcc, v6, v8
	s_addc_u32 s23, s23, 0
	s_nop 0
	v_subb_co_u32_e32 v1, vcc, v7, v1, vcc
	s_add_u32 s16, s16, 8
	s_waitcnt lgkmcnt(0)
	v_mul_lo_u32 v6, s2, v1
	v_mul_lo_u32 v7, s3, v5
	v_mad_u64_u32 v[2:3], s[2:3], s2, v5, v[2:3]
	s_addc_u32 s17, s17, 0
	v_add3_u32 v3, v7, v3, v6
	v_mul_lo_u32 v1, s24, v1
	v_mul_lo_u32 v6, s25, v5
	v_mad_u64_u32 v[36:37], s[2:3], s24, v5, v[36:37]
	s_add_u32 s18, s18, 8
	v_add3_u32 v37, v6, v37, v1
	s_addc_u32 s19, s19, 0
	v_mov_b64_e32 v[6:7], s[10:11]
	s_add_u32 s20, s20, 8
	v_cmp_ge_u64_e32 vcc, s[22:23], v[6:7]
	s_addc_u32 s21, s21, 0
	s_cbranch_vccnz .LBB0_9
; %bb.7:                                ;   in Loop: Header=BB0_2 Depth=1
	v_mov_b64_e32 v[6:7], v[38:39]
	s_branch .LBB0_2
.LBB0_8:
	v_mov_b64_e32 v[36:37], v[2:3]
	v_mov_b64_e32 v[38:39], v[6:7]
.LBB0_9:
	s_load_dwordx2 s[2:3], s[0:1], 0x28
	s_lshl_b64 s[16:17], s[10:11], 3
	s_add_u32 s10, s14, s16
	s_addc_u32 s11, s15, s17
                                        ; implicit-def: $vgpr40
	s_waitcnt lgkmcnt(0)
	v_cmp_gt_u64_e64 s[0:1], s[2:3], v[38:39]
	v_cmp_le_u64_e32 vcc, s[2:3], v[38:39]
	s_and_saveexec_b64 s[2:3], vcc
	s_xor_b64 s[2:3], exec, s[2:3]
; %bb.10:
	s_mov_b32 s14, 0x226b903
	v_mul_hi_u32 v1, v0, s14
	v_mul_u32_u24_e32 v1, 0x77, v1
	v_sub_u32_e32 v40, v0, v1
                                        ; implicit-def: $vgpr0
                                        ; implicit-def: $vgpr2_vgpr3
; %bb.11:
	s_or_saveexec_b64 s[2:3], s[2:3]
	s_load_dwordx2 s[10:11], s[10:11], 0x0
	s_xor_b64 exec, exec, s[2:3]
	s_cbranch_execz .LBB0_15
; %bb.12:
	s_add_u32 s12, s12, s16
	s_addc_u32 s13, s13, s17
	s_load_dwordx2 s[12:13], s[12:13], 0x0
	s_mov_b32 s14, 0x226b903
	s_waitcnt lgkmcnt(0)
	v_mul_lo_u32 v1, s13, v38
	v_mul_lo_u32 v6, s12, v39
	v_mad_u64_u32 v[4:5], s[12:13], s12, v38, 0
	v_add3_u32 v5, v5, v6, v1
	v_mul_hi_u32 v1, v0, s14
	v_mul_u32_u24_e32 v1, 0x77, v1
	v_sub_u32_e32 v40, v0, v1
	v_lshl_add_u64 v[0:1], v[4:5], 3, s[4:5]
	v_lshl_add_u64 v[2:3], v[2:3], 3, v[0:1]
	v_lshlrev_b32_e32 v0, 3, v40
	v_mov_b32_e32 v1, 0
	v_lshl_add_u64 v[4:5], v[2:3], 0, v[0:1]
	s_movk_i32 s4, 0x1000
	v_add_co_u32_e32 v14, vcc, s4, v4
	global_load_dwordx2 v[6:7], v[4:5], off
	global_load_dwordx2 v[8:9], v[4:5], off offset:952
	global_load_dwordx2 v[10:11], v[4:5], off offset:1904
	;; [unrolled: 1-line block ×3, first 2 shown]
	v_addc_co_u32_e32 v15, vcc, 0, v5, vcc
	global_load_dwordx2 v[16:17], v[4:5], off offset:3808
	global_load_dwordx2 v[18:19], v[14:15], off offset:664
	;; [unrolled: 1-line block ×4, first 2 shown]
	v_add_co_u32_e32 v4, vcc, 0x2000, v4
	s_movk_i32 s4, 0x76
	s_nop 0
	v_addc_co_u32_e32 v5, vcc, 0, v5, vcc
	global_load_dwordx2 v[24:25], v[14:15], off offset:3520
	global_load_dwordx2 v[26:27], v[4:5], off offset:376
	;; [unrolled: 1-line block ×4, first 2 shown]
	v_add_u32_e32 v0, 0, v0
	v_cmp_eq_u32_e32 vcc, s4, v40
	v_add_u32_e32 v4, 0x400, v0
	v_add_u32_e32 v5, 0xc00, v0
	;; [unrolled: 1-line block ×5, first 2 shown]
	s_waitcnt vmcnt(10)
	ds_write2_b64 v0, v[6:7], v[8:9] offset1:119
	s_waitcnt vmcnt(8)
	ds_write2_b64 v4, v[10:11], v[12:13] offset0:110 offset1:229
	s_waitcnt vmcnt(6)
	ds_write2_b64 v5, v[16:17], v[18:19] offset0:92 offset1:211
	;; [unrolled: 2-line block ×5, first 2 shown]
	s_and_saveexec_b64 s[4:5], vcc
	s_cbranch_execz .LBB0_14
; %bb.13:
	v_add_co_u32_e32 v2, vcc, 0x2000, v2
	v_mov_b32_e32 v40, 0x76
	s_nop 0
	v_addc_co_u32_e32 v3, vcc, 0, v3, vcc
	global_load_dwordx2 v[2:3], v[2:3], off offset:3232
	s_waitcnt vmcnt(0)
	ds_write_b64 v1, v[2:3] offset:11424
.LBB0_14:
	s_or_b64 exec, exec, s[4:5]
.LBB0_15:
	s_or_b64 exec, exec, s[2:3]
	v_lshlrev_b32_e32 v0, 3, v40
	v_add_u32_e32 v212, 0, v0
	s_waitcnt lgkmcnt(0)
	s_barrier
	v_sub_u32_e32 v4, 0, v0
	ds_read_b32 v1, v212
	ds_read_b32 v2, v4 offset:11424
	s_add_u32 s2, s8, 0x2c18
	s_addc_u32 s3, s9, 0
	v_cmp_ne_u32_e32 vcc, 0, v40
	s_waitcnt lgkmcnt(0)
	v_add_f32_e32 v0, v2, v1
	v_sub_f32_e32 v1, v1, v2
                                        ; implicit-def: $vgpr2_vgpr3
	s_and_saveexec_b64 s[4:5], vcc
	s_xor_b64 s[4:5], exec, s[4:5]
	s_cbranch_execz .LBB0_17
; %bb.16:
	v_mov_b32_e32 v41, 0
	v_lshl_add_u64 v[2:3], v[40:41], 3, s[2:3]
	global_load_dwordx2 v[6:7], v[2:3], off
	ds_read_b32 v5, v4 offset:11428
	ds_read_b32 v11, v212 offset:4
	v_mov_b32_e32 v8, v1
	v_mov_b32_e32 v10, v0
	;; [unrolled: 1-line block ×3, first 2 shown]
	v_mov_b64_e32 v[2:3], v[40:41]
	s_waitcnt lgkmcnt(0)
	v_add_f32_e32 v9, v5, v11
	v_sub_f32_e32 v11, v11, v5
	v_mov_b32_e32 v12, v9
	s_waitcnt vmcnt(0)
	v_pk_mul_f32 v[14:15], v[8:9], v[6:7] op_sel:[0,1]
	v_pk_fma_f32 v[8:9], v[8:9], v[6:7], v[10:11] op_sel:[0,1,0]
	v_mov_b32_e32 v1, v15
	v_mov_b32_e32 v15, v11
	v_pk_fma_f32 v[16:17], v[6:7], v[12:13], v[8:9] neg_lo:[1,0,0] neg_hi:[1,0,0]
	v_pk_fma_f32 v[8:9], v[6:7], v[12:13], v[8:9] op_sel_hi:[0,1,1]
	v_pk_add_f32 v[0:1], v[0:1], v[14:15] neg_lo:[0,1] neg_hi:[0,1]
	v_mov_b32_e32 v17, v9
	v_pk_fma_f32 v[0:1], v[6:7], v[12:13], v[0:1] op_sel_hi:[0,1,1]
	ds_write_b64 v4, v[0:1] offset:11424
	v_mov_b64_e32 v[0:1], v[16:17]
.LBB0_17:
	s_andn2_saveexec_b64 s[4:5], s[4:5]
	s_cbranch_execz .LBB0_19
; %bb.18:
	v_mov_b32_e32 v5, 0
	ds_read_b64 v[2:3], v5 offset:5712
	s_mov_b32 s12, 2.0
	s_mov_b32 s13, -2.0
	s_waitcnt lgkmcnt(0)
	v_pk_mul_f32 v[2:3], v[2:3], s[12:13]
	ds_write_b64 v5, v[2:3] offset:5712
	v_mov_b64_e32 v[2:3], 0
.LBB0_19:
	s_or_b64 exec, exec, s[4:5]
	v_lshl_add_u64 v[2:3], v[2:3], 3, s[2:3]
	global_load_dwordx2 v[2:3], v[2:3], off offset:952
	v_add_u32_e32 v42, 0xee, v40
	v_mov_b32_e32 v43, 0
	v_lshl_add_u64 v[6:7], v[42:43], 3, s[2:3]
	global_load_dwordx2 v[6:7], v[6:7], off
	v_add_u32_e32 v44, 0x165, v40
	v_mov_b32_e32 v45, v43
	v_lshl_add_u64 v[8:9], v[44:45], 3, s[2:3]
	global_load_dwordx2 v[8:9], v[8:9], off
	;; [unrolled: 4-line block ×3, first 2 shown]
	v_add_u32_e32 v46, 0x253, v40
	v_mov_b32_e32 v47, v43
	ds_write_b64 v212, v[0:1]
	v_lshl_add_u64 v[14:15], v[46:47], 3, s[2:3]
	ds_read_b64 v[0:1], v4 offset:10472
	ds_read_b64 v[12:13], v212 offset:952
	global_load_dwordx2 v[14:15], v[14:15], off
	v_lshl_add_u32 v41, v42, 3, 0
	v_lshl_add_u32 v45, v44, 3, 0
	;; [unrolled: 1-line block ×3, first 2 shown]
	s_waitcnt lgkmcnt(0)
	v_pk_add_f32 v[16:17], v[12:13], v[0:1]
	v_pk_add_f32 v[0:1], v[12:13], v[0:1] neg_lo:[0,1] neg_hi:[0,1]
	v_mov_b32_e32 v12, v17
	v_mov_b32_e32 v13, v0
	;; [unrolled: 1-line block ×3, first 2 shown]
	v_lshl_add_u32 v47, v46, 3, 0
	s_mov_b32 s18, 0xbf7ee86f
	s_mov_b32 s2, 0x3dbcf732
	s_mov_b32 s16, 0xbe3c28d5
	s_mov_b32 s14, 0xbf7ba420
	s_mov_b32 s42, 0x3f763a35
	s_mov_b32 s12, 0xbe8c1d8e
	s_mov_b32 s24, 0x3eb8f4ab
	s_mov_b32 s22, 0x3f6eb680
	v_add_u32_e32 v49, 0x1800, v212
	s_mov_b32 s50, 0xbf65296c
	s_mov_b32 s20, 0x3ee437d1
	;; [unrolled: 1-line block ×13, first 2 shown]
	s_waitcnt vmcnt(4)
	v_pk_mul_f32 v[18:19], v[12:13], v[2:3] op_sel:[0,1]
	s_nop 0
	v_pk_add_f32 v[20:21], v[16:17], v[18:19] op_sel:[0,1] op_sel_hi:[1,0]
	v_mov_b32_e32 v17, v18
	v_mov_b32_e32 v0, v19
	v_pk_fma_f32 v[18:19], v[2:3], v[12:13], v[20:21] neg_lo:[1,0,0] neg_hi:[1,0,0]
	v_pk_fma_f32 v[20:21], v[2:3], v[12:13], v[20:21] op_sel_hi:[0,1,1]
	v_pk_add_f32 v[0:1], v[16:17], v[0:1] neg_lo:[0,1] neg_hi:[0,1]
	v_mov_b32_e32 v19, v21
	v_pk_fma_f32 v[0:1], v[2:3], v[12:13], v[0:1] op_sel_hi:[0,1,1]
	ds_write_b64 v212, v[18:19] offset:952
	ds_write_b64 v4, v[0:1] offset:10472
	ds_read_b64 v[0:1], v4 offset:9520
	ds_read_b64 v[2:3], v41
	s_waitcnt lgkmcnt(0)
	v_pk_add_f32 v[12:13], v[2:3], v[0:1]
	v_pk_add_f32 v[0:1], v[2:3], v[0:1] neg_lo:[0,1] neg_hi:[0,1]
	v_mov_b32_e32 v2, v13
	v_mov_b32_e32 v3, v0
	;; [unrolled: 1-line block ×3, first 2 shown]
	s_waitcnt vmcnt(3)
	v_pk_mul_f32 v[16:17], v[2:3], v[6:7] op_sel:[0,1]
	s_nop 0
	v_pk_add_f32 v[18:19], v[12:13], v[16:17] op_sel:[0,1] op_sel_hi:[1,0]
	v_mov_b32_e32 v13, v16
	v_mov_b32_e32 v0, v17
	v_pk_fma_f32 v[16:17], v[6:7], v[2:3], v[18:19] neg_lo:[1,0,0] neg_hi:[1,0,0]
	v_pk_fma_f32 v[18:19], v[6:7], v[2:3], v[18:19] op_sel_hi:[0,1,1]
	v_pk_add_f32 v[0:1], v[12:13], v[0:1] neg_lo:[0,1] neg_hi:[0,1]
	v_mov_b32_e32 v17, v19
	v_pk_fma_f32 v[0:1], v[6:7], v[2:3], v[0:1] op_sel_hi:[0,1,1]
	ds_write_b64 v41, v[16:17]
	ds_write_b64 v4, v[0:1] offset:9520
	ds_read_b64 v[0:1], v4 offset:8568
	ds_read_b64 v[2:3], v45
	s_waitcnt lgkmcnt(0)
	v_pk_add_f32 v[6:7], v[2:3], v[0:1]
	v_pk_add_f32 v[0:1], v[2:3], v[0:1] neg_lo:[0,1] neg_hi:[0,1]
	v_mov_b32_e32 v2, v7
	v_mov_b32_e32 v3, v0
	v_mov_b32_e32 v7, v1
	s_waitcnt vmcnt(2)
	v_pk_mul_f32 v[12:13], v[2:3], v[8:9] op_sel:[0,1]
	s_nop 0
	v_pk_add_f32 v[16:17], v[6:7], v[12:13] op_sel:[0,1] op_sel_hi:[1,0]
	v_mov_b32_e32 v7, v12
	v_mov_b32_e32 v0, v13
	v_pk_fma_f32 v[12:13], v[8:9], v[2:3], v[16:17] neg_lo:[1,0,0] neg_hi:[1,0,0]
	v_pk_fma_f32 v[16:17], v[8:9], v[2:3], v[16:17] op_sel_hi:[0,1,1]
	v_pk_add_f32 v[0:1], v[6:7], v[0:1] neg_lo:[0,1] neg_hi:[0,1]
	v_mov_b32_e32 v13, v17
	v_pk_fma_f32 v[0:1], v[8:9], v[2:3], v[0:1] op_sel_hi:[0,1,1]
	ds_write_b64 v45, v[12:13]
	ds_write_b64 v4, v[0:1] offset:8568
	ds_read_b64 v[0:1], v4 offset:7616
	ds_read_b64 v[2:3], v43
	v_add_u32_e32 v17, 0x2000, v212
	v_add_u32_e32 v16, 0x800, v212
	s_waitcnt lgkmcnt(0)
	v_pk_add_f32 v[6:7], v[2:3], v[0:1]
	v_pk_add_f32 v[0:1], v[2:3], v[0:1] neg_lo:[0,1] neg_hi:[0,1]
	v_mov_b32_e32 v2, v7
	v_mov_b32_e32 v3, v0
	;; [unrolled: 1-line block ×3, first 2 shown]
	s_waitcnt vmcnt(1)
	v_pk_mul_f32 v[8:9], v[2:3], v[10:11] op_sel:[0,1]
	s_nop 0
	v_pk_add_f32 v[12:13], v[6:7], v[8:9] op_sel:[0,1] op_sel_hi:[1,0]
	v_mov_b32_e32 v7, v8
	v_mov_b32_e32 v0, v9
	v_pk_fma_f32 v[8:9], v[10:11], v[2:3], v[12:13] neg_lo:[1,0,0] neg_hi:[1,0,0]
	v_pk_fma_f32 v[12:13], v[10:11], v[2:3], v[12:13] op_sel_hi:[0,1,1]
	v_pk_add_f32 v[0:1], v[6:7], v[0:1] neg_lo:[0,1] neg_hi:[0,1]
	v_mov_b32_e32 v9, v13
	v_pk_fma_f32 v[0:1], v[10:11], v[2:3], v[0:1] op_sel_hi:[0,1,1]
	ds_write_b64 v43, v[8:9]
	ds_write_b64 v4, v[0:1] offset:7616
	ds_read_b64 v[0:1], v4 offset:6664
	ds_read_b64 v[2:3], v47
	s_waitcnt lgkmcnt(0)
	v_pk_add_f32 v[6:7], v[2:3], v[0:1]
	v_pk_add_f32 v[0:1], v[2:3], v[0:1] neg_lo:[0,1] neg_hi:[0,1]
	v_mov_b32_e32 v2, v7
	v_mov_b32_e32 v3, v0
	;; [unrolled: 1-line block ×3, first 2 shown]
	s_waitcnt vmcnt(0)
	v_pk_mul_f32 v[8:9], v[2:3], v[14:15] op_sel:[0,1]
	s_nop 0
	v_pk_add_f32 v[10:11], v[6:7], v[8:9] op_sel:[0,1] op_sel_hi:[1,0]
	v_mov_b32_e32 v7, v8
	v_mov_b32_e32 v0, v9
	v_pk_fma_f32 v[8:9], v[14:15], v[2:3], v[10:11] neg_lo:[1,0,0] neg_hi:[1,0,0]
	v_pk_fma_f32 v[10:11], v[14:15], v[2:3], v[10:11] op_sel_hi:[0,1,1]
	v_pk_add_f32 v[0:1], v[6:7], v[0:1] neg_lo:[0,1] neg_hi:[0,1]
	v_mov_b32_e32 v9, v11
	v_pk_fma_f32 v[0:1], v[14:15], v[2:3], v[0:1] op_sel_hi:[0,1,1]
	ds_write_b64 v47, v[8:9]
	ds_write_b64 v4, v[0:1] offset:6664
	s_waitcnt lgkmcnt(0)
	s_barrier
	s_barrier
	ds_read2_b64 v[4:7], v212 offset1:84
	ds_read_b64 v[72:73], v212 offset:10752
	ds_read2_b64 v[12:15], v212 offset0:168 offset1:252
	ds_read2_b64 v[8:11], v17 offset0:152 offset1:236
	;; [unrolled: 1-line block ×3, first 2 shown]
	s_waitcnt lgkmcnt(3)
	v_pk_add_f32 v[60:61], v[6:7], v[72:73] neg_lo:[0,1] neg_hi:[0,1]
	v_pk_add_f32 v[52:53], v[72:73], v[6:7]
	v_pk_mul_f32 v[0:1], v[60:61], s[18:19] op_sel_hi:[1,0]
	s_waitcnt lgkmcnt(1)
	v_pk_add_f32 v[54:55], v[12:13], v[10:11] neg_lo:[0,1] neg_hi:[0,1]
	v_pk_fma_f32 v[122:123], v[52:53], s[2:3], v[0:1] op_sel:[0,0,1] op_sel_hi:[1,0,0]
	v_pk_fma_f32 v[116:117], v[52:53], s[2:3], v[0:1] op_sel:[0,0,1] op_sel_hi:[1,0,0] neg_lo:[0,0,1] neg_hi:[0,0,1]
	v_mov_b32_e32 v0, v122
	v_add_u32_e32 v122, 0x1c00, v212
	v_pk_add_f32 v[50:51], v[10:11], v[12:13]
	v_pk_mul_f32 v[2:3], v[54:55], s[16:17] op_sel_hi:[1,0]
	ds_read2_b64 v[16:19], v122 offset0:112 offset1:196
	v_pk_fma_f32 v[118:119], v[50:51], s[14:15], v[2:3] op_sel:[0,0,1] op_sel_hi:[1,0,0] neg_lo:[0,0,1] neg_hi:[0,0,1]
	v_pk_fma_f32 v[120:121], v[50:51], s[14:15], v[2:3] op_sel:[0,0,1] op_sel_hi:[1,0,0]
	v_mov_b32_e32 v1, v117
	v_mov_b32_e32 v2, v120
	v_pk_add_f32 v[0:1], v[4:5], v[0:1]
	v_mov_b32_e32 v3, v119
	v_pk_add_f32 v[58:59], v[14:15], v[8:9] neg_lo:[0,1] neg_hi:[0,1]
	v_pk_add_f32 v[0:1], v[2:3], v[0:1]
	v_pk_add_f32 v[56:57], v[8:9], v[14:15]
	v_pk_mul_f32 v[2:3], v[58:59], s[42:43] op_sel_hi:[1,0]
	s_waitcnt lgkmcnt(0)
	v_pk_add_f32 v[64:65], v[20:21], v[18:19] neg_lo:[0,1] neg_hi:[0,1]
	v_pk_fma_f32 v[132:133], v[56:57], s[12:13], v[2:3] op_sel:[0,0,1] op_sel_hi:[1,0,0] neg_lo:[0,0,1] neg_hi:[0,0,1]
	v_pk_fma_f32 v[134:135], v[56:57], s[12:13], v[2:3] op_sel:[0,0,1] op_sel_hi:[1,0,0]
	v_mov_b32_e32 v3, v133
	v_mov_b32_e32 v2, v134
	v_add_u32_e32 v120, 0xc00, v212
	v_pk_add_f32 v[0:1], v[2:3], v[0:1]
	v_pk_add_f32 v[62:63], v[18:19], v[20:21]
	v_pk_mul_f32 v[2:3], v[64:65], s[24:25] op_sel_hi:[1,0]
	ds_read2_b64 v[28:31], v120 offset0:120 offset1:204
	ds_read2_b64 v[24:27], v49 offset0:72 offset1:156
	v_pk_fma_f32 v[156:157], v[62:63], s[22:23], v[2:3] op_sel:[0,0,1] op_sel_hi:[1,0,0] neg_lo:[0,0,1] neg_hi:[0,0,1]
	v_pk_fma_f32 v[158:159], v[62:63], s[22:23], v[2:3] op_sel:[0,0,1] op_sel_hi:[1,0,0]
	v_mov_b32_e32 v3, v157
	v_mov_b32_e32 v2, v158
	v_pk_add_f32 v[68:69], v[22:23], v[16:17] neg_lo:[0,1] neg_hi:[0,1]
	v_pk_add_f32 v[0:1], v[2:3], v[0:1]
	v_pk_add_f32 v[66:67], v[16:17], v[22:23]
	v_pk_mul_f32 v[2:3], v[68:69], s[50:51] op_sel_hi:[1,0]
	s_waitcnt lgkmcnt(0)
	v_pk_add_f32 v[74:75], v[28:29], v[26:27] neg_lo:[0,1] neg_hi:[0,1]
	v_pk_fma_f32 v[164:165], v[66:67], s[20:21], v[2:3] op_sel:[0,0,1] op_sel_hi:[1,0,0] neg_lo:[0,0,1] neg_hi:[0,0,1]
	v_pk_fma_f32 v[166:167], v[66:67], s[20:21], v[2:3] op_sel:[0,0,1] op_sel_hi:[1,0,0]
	v_mov_b32_e32 v3, v165
	v_mov_b32_e32 v2, v166
	v_pk_add_f32 v[0:1], v[2:3], v[0:1]
	v_pk_add_f32 v[70:71], v[26:27], v[28:29]
	v_pk_mul_f32 v[2:3], v[74:75], s[30:31] op_sel_hi:[1,0]
	v_pk_add_f32 v[78:79], v[30:31], v[24:25] neg_lo:[0,1] neg_hi:[0,1]
	v_pk_fma_f32 v[168:169], v[70:71], s[26:27], v[2:3] op_sel:[0,0,1] op_sel_hi:[1,0,0] neg_lo:[0,0,1] neg_hi:[0,0,1]
	v_pk_fma_f32 v[170:171], v[70:71], s[26:27], v[2:3] op_sel:[0,0,1] op_sel_hi:[1,0,0]
	v_mov_b32_e32 v3, v169
	v_mov_b32_e32 v2, v170
	v_pk_add_f32 v[0:1], v[2:3], v[0:1]
	v_pk_add_f32 v[76:77], v[24:25], v[30:31]
	v_pk_mul_f32 v[2:3], v[78:79], s[44:45] op_sel_hi:[1,0]
	v_pk_mul_f32 v[32:33], v[54:55], s[52:53] op_sel_hi:[1,0]
	v_pk_fma_f32 v[172:173], v[76:77], s[28:29], v[2:3] op_sel:[0,0,1] op_sel_hi:[1,0,0] neg_lo:[0,0,1] neg_hi:[0,0,1]
	v_pk_fma_f32 v[174:175], v[76:77], s[28:29], v[2:3] op_sel:[0,0,1] op_sel_hi:[1,0,0]
	v_mov_b32_e32 v3, v173
	v_mov_b32_e32 v2, v174
	v_pk_add_f32 v[0:1], v[2:3], v[0:1]
	v_pk_mul_f32 v[2:3], v[60:61], s[34:35] op_sel_hi:[1,0]
	v_pk_fma_f32 v[182:183], v[50:51], s[26:27], v[32:33] op_sel:[0,0,1] op_sel_hi:[1,0,0]
	v_pk_fma_f32 v[178:179], v[52:53], s[12:13], v[2:3] op_sel:[0,0,1] op_sel_hi:[1,0,0]
	v_pk_fma_f32 v[176:177], v[52:53], s[12:13], v[2:3] op_sel:[0,0,1] op_sel_hi:[1,0,0] neg_lo:[0,0,1] neg_hi:[0,0,1]
	v_mov_b32_e32 v2, v178
	v_mov_b32_e32 v3, v177
	v_pk_fma_f32 v[180:181], v[50:51], s[26:27], v[32:33] op_sel:[0,0,1] op_sel_hi:[1,0,0] neg_lo:[0,0,1] neg_hi:[0,0,1]
	v_pk_add_f32 v[2:3], v[4:5], v[2:3]
	v_mov_b32_e32 v32, v182
	v_mov_b32_e32 v33, v181
	v_pk_add_f32 v[2:3], v[32:33], v[2:3]
	v_pk_mul_f32 v[32:33], v[58:59], s[40:41] op_sel_hi:[1,0]
	v_pk_mul_f32 v[80:81], v[78:79], s[48:49] op_sel_hi:[1,0]
	v_pk_fma_f32 v[184:185], v[56:57], s[38:39], v[32:33] op_sel:[0,0,1] op_sel_hi:[1,0,0]
	v_pk_fma_f32 v[186:187], v[56:57], s[38:39], v[32:33] op_sel:[0,0,1] op_sel_hi:[1,0,0] neg_lo:[0,0,1] neg_hi:[0,0,1]
	v_mov_b32_e32 v32, v184
	v_mov_b32_e32 v33, v187
	v_pk_add_f32 v[2:3], v[32:33], v[2:3]
	v_pk_mul_f32 v[32:33], v[64:65], s[50:51] op_sel_hi:[1,0]
	v_pk_fma_f32 v[200:201], v[76:77], s[22:23], v[80:81] op_sel:[0,0,1] op_sel_hi:[1,0,0]
	v_pk_fma_f32 v[188:189], v[62:63], s[20:21], v[32:33] op_sel:[0,0,1] op_sel_hi:[1,0,0]
	v_pk_fma_f32 v[190:191], v[62:63], s[20:21], v[32:33] op_sel:[0,0,1] op_sel_hi:[1,0,0] neg_lo:[0,0,1] neg_hi:[0,0,1]
	v_mov_b32_e32 v32, v188
	v_mov_b32_e32 v33, v191
	v_pk_add_f32 v[2:3], v[32:33], v[2:3]
	v_pk_mul_f32 v[32:33], v[68:69], s[16:17] op_sel_hi:[1,0]
	v_pk_fma_f32 v[202:203], v[76:77], s[22:23], v[80:81] op_sel:[0,0,1] op_sel_hi:[1,0,0] neg_lo:[0,0,1] neg_hi:[0,0,1]
	v_pk_fma_f32 v[192:193], v[66:67], s[14:15], v[32:33] op_sel:[0,0,1] op_sel_hi:[1,0,0]
	v_pk_fma_f32 v[194:195], v[66:67], s[14:15], v[32:33] op_sel:[0,0,1] op_sel_hi:[1,0,0] neg_lo:[0,0,1] neg_hi:[0,0,1]
	v_mov_b32_e32 v32, v192
	v_mov_b32_e32 v33, v195
	v_pk_add_f32 v[2:3], v[32:33], v[2:3]
	v_pk_mul_f32 v[32:33], v[74:75], s[36:37] op_sel_hi:[1,0]
	v_mov_b32_e32 v80, v200
	v_pk_fma_f32 v[196:197], v[70:71], s[2:3], v[32:33] op_sel:[0,0,1] op_sel_hi:[1,0,0]
	v_pk_fma_f32 v[198:199], v[70:71], s[2:3], v[32:33] op_sel:[0,0,1] op_sel_hi:[1,0,0] neg_lo:[0,0,1] neg_hi:[0,0,1]
	v_mov_b32_e32 v32, v196
	v_mov_b32_e32 v33, v199
	v_pk_add_f32 v[2:3], v[32:33], v[2:3]
	v_add_u32_e32 v32, 0x1000, v212
	ds_read2_b64 v[32:35], v32 offset0:160 offset1:244
	v_mov_b32_e32 v81, v203
	v_pk_add_f32 v[80:81], v[80:81], v[2:3]
	s_movk_i32 s3, 0x54
	v_cmp_gt_u32_e32 vcc, s3, v40
	s_waitcnt lgkmcnt(0)
	v_pk_add_f32 v[102:103], v[32:33], v[34:35] neg_lo:[0,1] neg_hi:[0,1]
	v_pk_add_f32 v[96:97], v[34:35], v[32:33]
	v_pk_mul_f32 v[2:3], v[102:103], s[40:41] op_sel_hi:[1,0]
	s_nop 0
	v_pk_fma_f32 v[208:209], v[96:97], s[38:39], v[2:3] op_sel:[0,0,1] op_sel_hi:[1,0,0] neg_lo:[0,0,1] neg_hi:[0,0,1]
	v_pk_fma_f32 v[210:211], v[96:97], s[38:39], v[2:3] op_sel:[0,0,1] op_sel_hi:[1,0,0]
	v_mov_b32_e32 v3, v209
	v_mov_b32_e32 v2, v210
	v_pk_add_f32 v[2:3], v[2:3], v[0:1]
	v_pk_mul_f32 v[0:1], v[102:103], s[46:47] op_sel_hi:[1,0]
	s_barrier
	v_pk_fma_f32 v[204:205], v[96:97], s[28:29], v[0:1] op_sel:[0,0,1] op_sel_hi:[1,0,0]
	v_pk_fma_f32 v[206:207], v[96:97], s[28:29], v[0:1] op_sel:[0,0,1] op_sel_hi:[1,0,0] neg_lo:[0,0,1] neg_hi:[0,0,1]
	v_mov_b32_e32 v0, v204
	v_mov_b32_e32 v1, v207
	v_pk_add_f32 v[0:1], v[0:1], v[80:81]
	s_and_saveexec_b64 s[4:5], vcc
	s_cbranch_execz .LBB0_21
; %bb.20:
	v_pk_add_f32 v[6:7], v[4:5], v[6:7]
	s_mov_b32 s54, 0xbf2c7751
	v_pk_add_f32 v[6:7], v[6:7], v[12:13]
	v_pk_mul_f32 v[12:13], v[54:55], s[54:55] op_sel_hi:[1,0]
	v_pk_add_f32 v[6:7], v[6:7], v[14:15]
	v_mov_b32_e32 v117, v123
	v_pk_add_f32 v[6:7], v[6:7], v[20:21]
	v_mov_b32_e32 v119, v121
	v_pk_add_f32 v[6:7], v[6:7], v[22:23]
	v_pk_add_f32 v[116:117], v[4:5], v[116:117]
	;; [unrolled: 1-line block ×3, first 2 shown]
	v_mov_b32_e32 v177, v179
	v_pk_add_f32 v[6:7], v[6:7], v[30:31]
	v_pk_mul_f32 v[86:87], v[54:55], s[18:19] op_sel_hi:[1,0]
	v_pk_add_f32 v[6:7], v[6:7], v[32:33]
	v_pk_add_f32 v[116:117], v[118:119], v[116:117]
	v_pk_add_f32 v[6:7], v[6:7], v[34:35]
	v_mov_b32_e32 v181, v183
	v_pk_add_f32 v[6:7], v[6:7], v[24:25]
	v_pk_add_f32 v[118:119], v[4:5], v[176:177]
	v_pk_add_f32 v[6:7], v[6:7], v[26:27]
	v_mov_b32_e32 v133, v135
	;; [unrolled: 4-line block ×3, first 2 shown]
	v_pk_add_f32 v[6:7], v[6:7], v[8:9]
	v_pk_mul_f32 v[8:9], v[60:61], s[48:49] op_sel_hi:[1,0]
	v_pk_add_f32 v[6:7], v[6:7], v[10:11]
	v_pk_add_f32 v[116:117], v[132:133], v[116:117]
	;; [unrolled: 1-line block ×3, first 2 shown]
	v_pk_fma_f32 v[6:7], v[52:53], s[22:23], v[8:9] op_sel:[0,0,1] op_sel_hi:[1,0,0] neg_lo:[0,0,1] neg_hi:[0,0,1]
	v_pk_fma_f32 v[8:9], v[52:53], s[22:23], v[8:9] op_sel:[0,0,1] op_sel_hi:[1,0,0]
	v_mov_b32_e32 v10, v6
	v_mov_b32_e32 v11, v9
	v_pk_add_f32 v[14:15], v[4:5], v[10:11]
	v_pk_fma_f32 v[10:11], v[50:51], s[38:39], v[12:13] op_sel:[0,0,1] op_sel_hi:[1,0,0] neg_lo:[0,0,1] neg_hi:[0,0,1]
	v_pk_fma_f32 v[12:13], v[50:51], s[38:39], v[12:13] op_sel:[0,0,1] op_sel_hi:[1,0,0]
	v_mov_b32_e32 v16, v10
	v_mov_b32_e32 v17, v13
	v_pk_add_f32 v[18:19], v[16:17], v[14:15]
	v_pk_mul_f32 v[16:17], v[58:59], s[50:51] op_sel_hi:[1,0]
	v_lshl_add_u32 v6, v40, 7, v212
	v_pk_fma_f32 v[14:15], v[56:57], s[20:21], v[16:17] op_sel:[0,0,1] op_sel_hi:[1,0,0] neg_lo:[0,0,1] neg_hi:[0,0,1]
	v_pk_fma_f32 v[16:17], v[56:57], s[20:21], v[16:17] op_sel:[0,0,1] op_sel_hi:[1,0,0]
	v_mov_b32_e32 v20, v14
	v_mov_b32_e32 v21, v17
	v_pk_add_f32 v[22:23], v[20:21], v[18:19]
	v_pk_mul_f32 v[20:21], v[64:65], s[18:19] op_sel_hi:[1,0]
	v_mov_b32_e32 v157, v159
	v_pk_fma_f32 v[18:19], v[62:63], s[2:3], v[20:21] op_sel:[0,0,1] op_sel_hi:[1,0,0] neg_lo:[0,0,1] neg_hi:[0,0,1]
	v_pk_fma_f32 v[20:21], v[62:63], s[2:3], v[20:21] op_sel:[0,0,1] op_sel_hi:[1,0,0]
	v_mov_b32_e32 v24, v18
	v_mov_b32_e32 v25, v21
	v_pk_add_f32 v[26:27], v[24:25], v[22:23]
	v_pk_mul_f32 v[24:25], v[68:69], s[34:35] op_sel_hi:[1,0]
	v_pk_add_f32 v[118:119], v[186:187], v[118:119]
	v_pk_fma_f32 v[22:23], v[66:67], s[12:13], v[24:25] op_sel:[0,0,1] op_sel_hi:[1,0,0] neg_lo:[0,0,1] neg_hi:[0,0,1]
	v_pk_fma_f32 v[24:25], v[66:67], s[12:13], v[24:25] op_sel:[0,0,1] op_sel_hi:[1,0,0]
	v_mov_b32_e32 v28, v22
	v_mov_b32_e32 v29, v25
	v_pk_add_f32 v[30:31], v[28:29], v[26:27]
	v_pk_mul_f32 v[28:29], v[74:75], s[46:47] op_sel_hi:[1,0]
	v_mov_b32_e32 v191, v189
	v_pk_fma_f32 v[26:27], v[70:71], s[28:29], v[28:29] op_sel:[0,0,1] op_sel_hi:[1,0,0] neg_lo:[0,0,1] neg_hi:[0,0,1]
	v_pk_fma_f32 v[28:29], v[70:71], s[28:29], v[28:29] op_sel:[0,0,1] op_sel_hi:[1,0,0]
	v_mov_b32_e32 v32, v26
	v_mov_b32_e32 v33, v29
	v_pk_add_f32 v[34:35], v[32:33], v[30:31]
	v_pk_mul_f32 v[32:33], v[78:79], s[30:31] op_sel_hi:[1,0]
	v_pk_add_f32 v[116:117], v[156:157], v[116:117]
	v_pk_fma_f32 v[30:31], v[76:77], s[26:27], v[32:33] op_sel:[0,0,1] op_sel_hi:[1,0,0] neg_lo:[0,0,1] neg_hi:[0,0,1]
	v_pk_fma_f32 v[32:33], v[76:77], s[26:27], v[32:33] op_sel:[0,0,1] op_sel_hi:[1,0,0]
	v_mov_b32_e32 v72, v30
	v_mov_b32_e32 v73, v33
	v_pk_add_f32 v[82:83], v[72:73], v[34:35]
	v_pk_mul_f32 v[72:73], v[102:103], s[16:17] op_sel_hi:[1,0]
	v_mov_b32_e32 v165, v167
	v_pk_fma_f32 v[34:35], v[96:97], s[14:15], v[72:73] op_sel:[0,0,1] op_sel_hi:[1,0,0] neg_lo:[0,0,1] neg_hi:[0,0,1]
	v_pk_fma_f32 v[72:73], v[96:97], s[14:15], v[72:73] op_sel:[0,0,1] op_sel_hi:[1,0,0]
	v_mov_b32_e32 v84, v34
	v_mov_b32_e32 v85, v73
	v_pk_add_f32 v[82:83], v[84:85], v[82:83]
	ds_write2_b64 v6, v[80:81], v[82:83] offset1:1
	v_pk_mul_f32 v[82:83], v[60:61], s[54:55] op_sel_hi:[1,0]
	v_pk_add_f32 v[118:119], v[190:191], v[118:119]
	v_pk_fma_f32 v[80:81], v[52:53], s[38:39], v[82:83] op_sel:[0,0,1] op_sel_hi:[1,0,0] neg_lo:[0,0,1] neg_hi:[0,0,1]
	v_pk_fma_f32 v[82:83], v[52:53], s[38:39], v[82:83] op_sel:[0,0,1] op_sel_hi:[1,0,0]
	v_mov_b32_e32 v84, v80
	v_mov_b32_e32 v85, v83
	v_pk_add_f32 v[88:89], v[4:5], v[84:85]
	v_pk_fma_f32 v[84:85], v[50:51], s[2:3], v[86:87] op_sel:[0,0,1] op_sel_hi:[1,0,0] neg_lo:[0,0,1] neg_hi:[0,0,1]
	v_pk_fma_f32 v[86:87], v[50:51], s[2:3], v[86:87] op_sel:[0,0,1] op_sel_hi:[1,0,0]
	v_mov_b32_e32 v90, v84
	v_mov_b32_e32 v91, v87
	v_pk_add_f32 v[92:93], v[90:91], v[88:89]
	v_pk_mul_f32 v[90:91], v[58:59], s[46:47] op_sel_hi:[1,0]
	v_mov_b32_e32 v195, v193
	v_pk_fma_f32 v[88:89], v[56:57], s[28:29], v[90:91] op_sel:[0,0,1] op_sel_hi:[1,0,0] neg_lo:[0,0,1] neg_hi:[0,0,1]
	v_pk_fma_f32 v[90:91], v[56:57], s[28:29], v[90:91] op_sel:[0,0,1] op_sel_hi:[1,0,0]
	v_pk_add_f32 v[116:117], v[164:165], v[116:117]
	v_mov_b32_e32 v169, v171
	v_pk_add_f32 v[118:119], v[194:195], v[118:119]
	v_mov_b32_e32 v199, v197
	v_mov_b32_e32 v94, v88
	;; [unrolled: 1-line block ×3, first 2 shown]
	v_pk_add_f32 v[116:117], v[168:169], v[116:117]
	v_mov_b32_e32 v173, v175
	v_pk_add_f32 v[118:119], v[198:199], v[118:119]
	v_mov_b32_e32 v203, v201
	v_pk_add_f32 v[98:99], v[94:95], v[92:93]
	v_pk_mul_f32 v[94:95], v[64:65], s[16:17] op_sel_hi:[1,0]
	v_pk_add_f32 v[116:117], v[172:173], v[116:117]
	v_mov_b32_e32 v209, v211
	v_pk_add_f32 v[118:119], v[202:203], v[118:119]
	v_mov_b32_e32 v207, v205
	v_pk_fma_f32 v[92:93], v[62:63], s[14:15], v[94:95] op_sel:[0,0,1] op_sel_hi:[1,0,0] neg_lo:[0,0,1] neg_hi:[0,0,1]
	v_pk_fma_f32 v[94:95], v[62:63], s[14:15], v[94:95] op_sel:[0,0,1] op_sel_hi:[1,0,0]
	v_pk_add_f32 v[116:117], v[208:209], v[116:117]
	v_pk_add_f32 v[118:119], v[206:207], v[118:119]
	v_mov_b32_e32 v100, v92
	v_mov_b32_e32 v101, v95
	ds_write2_b64 v6, v[116:117], v[118:119] offset0:4 offset1:5
	v_pk_mul_f32 v[116:117], v[60:61], s[46:47] op_sel_hi:[1,0]
	v_pk_add_f32 v[104:105], v[100:101], v[98:99]
	v_pk_mul_f32 v[100:101], v[68:69], s[52:53] op_sel_hi:[1,0]
	v_pk_fma_f32 v[118:119], v[52:53], s[28:29], v[116:117] op_sel:[0,0,1] op_sel_hi:[1,0,0] neg_lo:[0,0,1] neg_hi:[0,0,1]
	v_pk_fma_f32 v[116:117], v[52:53], s[28:29], v[116:117] op_sel:[0,0,1] op_sel_hi:[1,0,0]
	v_pk_mul_f32 v[134:135], v[54:55], s[42:43] op_sel_hi:[1,0]
	v_pk_fma_f32 v[98:99], v[66:67], s[26:27], v[100:101] op_sel:[0,0,1] op_sel_hi:[1,0,0] neg_lo:[0,0,1] neg_hi:[0,0,1]
	v_pk_fma_f32 v[100:101], v[66:67], s[26:27], v[100:101] op_sel:[0,0,1] op_sel_hi:[1,0,0]
	v_mov_b32_e32 v132, v118
	v_mov_b32_e32 v133, v117
	v_pk_fma_f32 v[156:157], v[50:51], s[12:13], v[134:135] op_sel:[0,0,1] op_sel_hi:[1,0,0] neg_lo:[0,0,1] neg_hi:[0,0,1]
	v_pk_fma_f32 v[134:135], v[50:51], s[12:13], v[134:135] op_sel:[0,0,1] op_sel_hi:[1,0,0]
	v_mov_b32_e32 v106, v98
	v_mov_b32_e32 v107, v101
	v_pk_add_f32 v[132:133], v[4:5], v[132:133]
	v_mov_b32_e32 v158, v156
	v_mov_b32_e32 v159, v135
	v_pk_add_f32 v[108:109], v[106:107], v[104:105]
	v_pk_mul_f32 v[106:107], v[74:75], s[42:43] op_sel_hi:[1,0]
	v_pk_add_f32 v[132:133], v[158:159], v[132:133]
	v_pk_mul_f32 v[158:159], v[58:59], s[48:49] op_sel_hi:[1,0]
	v_pk_fma_f32 v[104:105], v[70:71], s[12:13], v[106:107] op_sel:[0,0,1] op_sel_hi:[1,0,0] neg_lo:[0,0,1] neg_hi:[0,0,1]
	v_pk_fma_f32 v[106:107], v[70:71], s[12:13], v[106:107] op_sel:[0,0,1] op_sel_hi:[1,0,0]
	v_pk_fma_f32 v[164:165], v[56:57], s[22:23], v[158:159] op_sel:[0,0,1] op_sel_hi:[1,0,0] neg_lo:[0,0,1] neg_hi:[0,0,1]
	v_pk_fma_f32 v[158:159], v[56:57], s[22:23], v[158:159] op_sel:[0,0,1] op_sel_hi:[1,0,0]
	v_mov_b32_e32 v110, v104
	v_mov_b32_e32 v111, v107
	s_mov_b32 s52, 0x3f65296c
	v_mov_b32_e32 v166, v164
	v_mov_b32_e32 v167, v159
	v_pk_add_f32 v[112:113], v[110:111], v[108:109]
	v_pk_mul_f32 v[110:111], v[78:79], s[52:53] op_sel_hi:[1,0]
	v_pk_add_f32 v[132:133], v[166:167], v[132:133]
	v_pk_mul_f32 v[166:167], v[64:65], s[30:31] op_sel_hi:[1,0]
	v_pk_fma_f32 v[108:109], v[76:77], s[20:21], v[110:111] op_sel:[0,0,1] op_sel_hi:[1,0,0] neg_lo:[0,0,1] neg_hi:[0,0,1]
	v_pk_fma_f32 v[110:111], v[76:77], s[20:21], v[110:111] op_sel:[0,0,1] op_sel_hi:[1,0,0]
	v_pk_fma_f32 v[168:169], v[62:63], s[26:27], v[166:167] op_sel:[0,0,1] op_sel_hi:[1,0,0] neg_lo:[0,0,1] neg_hi:[0,0,1]
	v_pk_fma_f32 v[166:167], v[62:63], s[26:27], v[166:167] op_sel:[0,0,1] op_sel_hi:[1,0,0]
	v_mov_b32_e32 v114, v108
	v_mov_b32_e32 v115, v111
	v_mov_b32_e32 v170, v168
	v_mov_b32_e32 v171, v167
	v_pk_add_f32 v[124:125], v[114:115], v[112:113]
	v_pk_mul_f32 v[114:115], v[102:103], s[24:25] op_sel_hi:[1,0]
	v_pk_add_f32 v[132:133], v[170:171], v[132:133]
	v_pk_mul_f32 v[170:171], v[68:69], s[36:37] op_sel_hi:[1,0]
	v_pk_fma_f32 v[112:113], v[96:97], s[22:23], v[114:115] op_sel:[0,0,1] op_sel_hi:[1,0,0] neg_lo:[0,0,1] neg_hi:[0,0,1]
	v_pk_fma_f32 v[114:115], v[96:97], s[22:23], v[114:115] op_sel:[0,0,1] op_sel_hi:[1,0,0]
	v_pk_fma_f32 v[172:173], v[66:67], s[2:3], v[170:171] op_sel:[0,0,1] op_sel_hi:[1,0,0] neg_lo:[0,0,1] neg_hi:[0,0,1]
	v_pk_fma_f32 v[170:171], v[66:67], s[2:3], v[170:171] op_sel:[0,0,1] op_sel_hi:[1,0,0]
	v_mov_b32_e32 v126, v112
	v_mov_b32_e32 v127, v115
	;; [unrolled: 12-line block ×3, first 2 shown]
	v_pk_mul_f32 v[130:131], v[54:55], s[46:47] op_sel_hi:[1,0]
	v_mov_b32_e32 v178, v176
	v_mov_b32_e32 v179, v175
	v_pk_add_f32 v[136:137], v[4:5], v[128:129]
	v_pk_fma_f32 v[128:129], v[50:51], s[28:29], v[130:131] op_sel:[0,0,1] op_sel_hi:[1,0,0] neg_lo:[0,0,1] neg_hi:[0,0,1]
	v_pk_fma_f32 v[130:131], v[50:51], s[28:29], v[130:131] op_sel:[0,0,1] op_sel_hi:[1,0,0]
	v_pk_add_f32 v[132:133], v[178:179], v[132:133]
	v_pk_mul_f32 v[178:179], v[78:79], s[16:17] op_sel_hi:[1,0]
	v_mov_b32_e32 v138, v128
	v_mov_b32_e32 v139, v131
	s_mov_b32 s50, 0x3e3c28d5
	v_pk_fma_f32 v[180:181], v[76:77], s[14:15], v[178:179] op_sel:[0,0,1] op_sel_hi:[1,0,0] neg_lo:[0,0,1] neg_hi:[0,0,1]
	v_pk_fma_f32 v[178:179], v[76:77], s[14:15], v[178:179] op_sel:[0,0,1] op_sel_hi:[1,0,0]
	v_pk_add_f32 v[140:141], v[138:139], v[136:137]
	v_pk_mul_f32 v[138:139], v[58:59], s[50:51] op_sel_hi:[1,0]
	v_mov_b32_e32 v182, v180
	v_mov_b32_e32 v183, v179
	v_pk_fma_f32 v[136:137], v[56:57], s[14:15], v[138:139] op_sel:[0,0,1] op_sel_hi:[1,0,0] neg_lo:[0,0,1] neg_hi:[0,0,1]
	v_pk_fma_f32 v[138:139], v[56:57], s[14:15], v[138:139] op_sel:[0,0,1] op_sel_hi:[1,0,0]
	v_pk_add_f32 v[132:133], v[182:183], v[132:133]
	v_pk_mul_f32 v[182:183], v[102:103], s[52:53] op_sel_hi:[1,0]
	v_mov_b32_e32 v142, v136
	v_mov_b32_e32 v143, v139
	v_pk_fma_f32 v[184:185], v[96:97], s[20:21], v[182:183] op_sel:[0,0,1] op_sel_hi:[1,0,0] neg_lo:[0,0,1] neg_hi:[0,0,1]
	v_pk_fma_f32 v[182:183], v[96:97], s[20:21], v[182:183] op_sel:[0,0,1] op_sel_hi:[1,0,0]
	v_pk_add_f32 v[144:145], v[142:143], v[140:141]
	v_pk_mul_f32 v[142:143], v[64:65], s[42:43] op_sel_hi:[1,0]
	v_mov_b32_e32 v186, v184
	v_mov_b32_e32 v187, v183
	v_pk_fma_f32 v[140:141], v[62:63], s[12:13], v[142:143] op_sel:[0,0,1] op_sel_hi:[1,0,0] neg_lo:[0,0,1] neg_hi:[0,0,1]
	v_pk_fma_f32 v[142:143], v[62:63], s[12:13], v[142:143] op_sel:[0,0,1] op_sel_hi:[1,0,0]
	v_pk_add_f32 v[132:133], v[186:187], v[132:133]
	v_pk_mul_f32 v[186:187], v[60:61], s[30:31] op_sel_hi:[1,0]
	v_mov_b32_e32 v146, v140
	v_mov_b32_e32 v147, v143
	v_pk_fma_f32 v[188:189], v[52:53], s[26:27], v[186:187] op_sel:[0,0,1] op_sel_hi:[1,0,0] neg_lo:[0,0,1] neg_hi:[0,0,1]
	v_pk_fma_f32 v[186:187], v[52:53], s[26:27], v[186:187] op_sel:[0,0,1] op_sel_hi:[1,0,0]
	v_pk_mul_f32 v[192:193], v[54:55], s[52:53] op_sel_hi:[1,0]
	v_pk_add_f32 v[148:149], v[146:147], v[144:145]
	v_pk_mul_f32 v[146:147], v[68:69], s[40:41] op_sel_hi:[1,0]
	v_mov_b32_e32 v190, v188
	v_mov_b32_e32 v191, v187
	v_pk_fma_f32 v[194:195], v[50:51], s[20:21], v[192:193] op_sel:[0,0,1] op_sel_hi:[1,0,0] neg_lo:[0,0,1] neg_hi:[0,0,1]
	v_pk_fma_f32 v[192:193], v[50:51], s[20:21], v[192:193] op_sel:[0,0,1] op_sel_hi:[1,0,0]
	v_pk_fma_f32 v[144:145], v[66:67], s[38:39], v[146:147] op_sel:[0,0,1] op_sel_hi:[1,0,0] neg_lo:[0,0,1] neg_hi:[0,0,1]
	v_pk_fma_f32 v[146:147], v[66:67], s[38:39], v[146:147] op_sel:[0,0,1] op_sel_hi:[1,0,0]
	v_pk_add_f32 v[190:191], v[4:5], v[190:191]
	v_mov_b32_e32 v196, v194
	v_mov_b32_e32 v197, v193
	v_mov_b32_e32 v150, v144
	v_mov_b32_e32 v151, v147
	v_pk_add_f32 v[190:191], v[196:197], v[190:191]
	v_pk_mul_f32 v[196:197], v[58:59], s[18:19] op_sel_hi:[1,0]
	v_pk_add_f32 v[152:153], v[150:151], v[148:149]
	v_pk_mul_f32 v[150:151], v[74:75], s[48:49] op_sel_hi:[1,0]
	v_pk_fma_f32 v[198:199], v[56:57], s[2:3], v[196:197] op_sel:[0,0,1] op_sel_hi:[1,0,0] neg_lo:[0,0,1] neg_hi:[0,0,1]
	v_pk_fma_f32 v[196:197], v[56:57], s[2:3], v[196:197] op_sel:[0,0,1] op_sel_hi:[1,0,0]
	v_pk_fma_f32 v[148:149], v[70:71], s[22:23], v[150:151] op_sel:[0,0,1] op_sel_hi:[1,0,0] neg_lo:[0,0,1] neg_hi:[0,0,1]
	v_pk_fma_f32 v[150:151], v[70:71], s[22:23], v[150:151] op_sel:[0,0,1] op_sel_hi:[1,0,0]
	v_mov_b32_e32 v200, v198
	v_mov_b32_e32 v201, v197
	v_mov_b32_e32 v154, v148
	v_mov_b32_e32 v155, v151
	v_pk_add_f32 v[190:191], v[200:201], v[190:191]
	v_pk_mul_f32 v[200:201], v[64:65], s[44:45] op_sel_hi:[1,0]
	v_pk_add_f32 v[160:161], v[154:155], v[152:153]
	v_pk_mul_f32 v[154:155], v[78:79], s[18:19] op_sel_hi:[1,0]
	v_pk_fma_f32 v[202:203], v[62:63], s[28:29], v[200:201] op_sel:[0,0,1] op_sel_hi:[1,0,0] neg_lo:[0,0,1] neg_hi:[0,0,1]
	v_pk_fma_f32 v[200:201], v[62:63], s[28:29], v[200:201] op_sel:[0,0,1] op_sel_hi:[1,0,0]
	v_pk_fma_f32 v[152:153], v[76:77], s[2:3], v[154:155] op_sel:[0,0,1] op_sel_hi:[1,0,0] neg_lo:[0,0,1] neg_hi:[0,0,1]
	v_pk_fma_f32 v[154:155], v[76:77], s[2:3], v[154:155] op_sel:[0,0,1] op_sel_hi:[1,0,0]
	;; [unrolled: 12-line block ×3, first 2 shown]
	v_mov_b32_e32 v208, v206
	v_mov_b32_e32 v209, v205
	;; [unrolled: 1-line block ×4, first 2 shown]
	v_pk_add_f32 v[190:191], v[208:209], v[190:191]
	v_pk_mul_f32 v[208:209], v[74:75], s[16:17] op_sel_hi:[1,0]
	v_pk_add_f32 v[216:217], v[218:219], v[216:217]
	v_pk_fma_f32 v[210:211], v[70:71], s[14:15], v[208:209] op_sel:[0,0,1] op_sel_hi:[1,0,0] neg_lo:[0,0,1] neg_hi:[0,0,1]
	v_pk_fma_f32 v[208:209], v[70:71], s[14:15], v[208:209] op_sel:[0,0,1] op_sel_hi:[1,0,0]
	ds_write2_b64 v6, v[214:215], v[216:217] offset0:2 offset1:3
	v_mov_b32_e32 v214, v210
	v_mov_b32_e32 v215, v209
	v_pk_add_f32 v[190:191], v[214:215], v[190:191]
	v_pk_mul_f32 v[214:215], v[78:79], s[40:41] op_sel_hi:[1,0]
	v_pk_mul_f32 v[60:61], v[60:61], s[16:17] op_sel_hi:[1,0]
	v_pk_fma_f32 v[216:217], v[76:77], s[38:39], v[214:215] op_sel:[0,0,1] op_sel_hi:[1,0,0] neg_lo:[0,0,1] neg_hi:[0,0,1]
	v_pk_fma_f32 v[214:215], v[76:77], s[38:39], v[214:215] op_sel:[0,0,1] op_sel_hi:[1,0,0]
	v_mov_b32_e32 v218, v216
	v_mov_b32_e32 v219, v215
	v_pk_add_f32 v[190:191], v[218:219], v[190:191]
	v_pk_mul_f32 v[218:219], v[102:103], s[34:35] op_sel_hi:[1,0]
	v_pk_mul_f32 v[54:55], v[54:55], s[24:25] op_sel_hi:[1,0]
	v_pk_fma_f32 v[220:221], v[96:97], s[12:13], v[218:219] op_sel:[0,0,1] op_sel_hi:[1,0,0] neg_lo:[0,0,1] neg_hi:[0,0,1]
	v_pk_fma_f32 v[218:219], v[96:97], s[12:13], v[218:219] op_sel:[0,0,1] op_sel_hi:[1,0,0]
	v_mov_b32_e32 v222, v220
	v_mov_b32_e32 v223, v219
	v_pk_add_f32 v[190:191], v[222:223], v[190:191]
	ds_write2_b64 v6, v[132:133], v[190:191] offset0:6 offset1:7
	v_pk_fma_f32 v[132:133], v[52:53], s[14:15], v[60:61] op_sel:[0,0,1] op_sel_hi:[1,0,0] neg_lo:[0,0,1] neg_hi:[0,0,1]
	v_pk_fma_f32 v[52:53], v[52:53], s[14:15], v[60:61] op_sel:[0,0,1] op_sel_hi:[1,0,0]
	v_pk_fma_f32 v[60:61], v[50:51], s[22:23], v[54:55] op_sel:[0,0,1] op_sel_hi:[1,0,0] neg_lo:[0,0,1] neg_hi:[0,0,1]
	v_pk_fma_f32 v[50:51], v[50:51], s[22:23], v[54:55] op_sel:[0,0,1] op_sel_hi:[1,0,0]
	v_mov_b32_e32 v54, v132
	v_mov_b32_e32 v55, v53
	v_pk_add_f32 v[54:55], v[4:5], v[54:55]
	v_mov_b32_e32 v190, v60
	v_mov_b32_e32 v191, v51
	v_pk_mul_f32 v[58:59], v[58:59], s[30:31] op_sel_hi:[1,0]
	v_pk_add_f32 v[54:55], v[190:191], v[54:55]
	v_pk_fma_f32 v[190:191], v[56:57], s[26:27], v[58:59] op_sel:[0,0,1] op_sel_hi:[1,0,0] neg_lo:[0,0,1] neg_hi:[0,0,1]
	v_pk_fma_f32 v[56:57], v[56:57], s[26:27], v[58:59] op_sel:[0,0,1] op_sel_hi:[1,0,0]
	v_mov_b32_e32 v58, v190
	v_mov_b32_e32 v59, v57
	v_pk_add_f32 v[54:55], v[58:59], v[54:55]
	v_pk_mul_f32 v[58:59], v[64:65], s[40:41] op_sel_hi:[1,0]
	v_mov_b32_e32 v53, v133
	v_pk_fma_f32 v[64:65], v[62:63], s[38:39], v[58:59] op_sel:[0,0,1] op_sel_hi:[1,0,0] neg_lo:[0,0,1] neg_hi:[0,0,1]
	v_pk_fma_f32 v[58:59], v[62:63], s[38:39], v[58:59] op_sel:[0,0,1] op_sel_hi:[1,0,0]
	v_mov_b32_e32 v62, v64
	v_mov_b32_e32 v63, v59
	v_pk_add_f32 v[54:55], v[62:63], v[54:55]
	v_pk_mul_f32 v[62:63], v[68:69], s[46:47] op_sel_hi:[1,0]
	v_mov_b32_e32 v51, v61
	v_pk_fma_f32 v[68:69], v[66:67], s[28:29], v[62:63] op_sel:[0,0,1] op_sel_hi:[1,0,0] neg_lo:[0,0,1] neg_hi:[0,0,1]
	v_pk_fma_f32 v[62:63], v[66:67], s[28:29], v[62:63] op_sel:[0,0,1] op_sel_hi:[1,0,0]
	v_mov_b32_e32 v66, v68
	v_mov_b32_e32 v67, v63
	v_pk_add_f32 v[54:55], v[66:67], v[54:55]
	v_pk_mul_f32 v[66:67], v[74:75], s[52:53] op_sel_hi:[1,0]
	v_pk_add_f32 v[52:53], v[4:5], v[52:53]
	v_pk_fma_f32 v[74:75], v[70:71], s[20:21], v[66:67] op_sel:[0,0,1] op_sel_hi:[1,0,0] neg_lo:[0,0,1] neg_hi:[0,0,1]
	v_pk_fma_f32 v[66:67], v[70:71], s[20:21], v[66:67] op_sel:[0,0,1] op_sel_hi:[1,0,0]
	v_mov_b32_e32 v70, v74
	v_mov_b32_e32 v71, v67
	v_pk_add_f32 v[54:55], v[70:71], v[54:55]
	v_pk_mul_f32 v[70:71], v[78:79], s[34:35] op_sel_hi:[1,0]
	v_pk_add_f32 v[50:51], v[50:51], v[52:53]
	v_mov_b32_e32 v57, v191
	v_pk_fma_f32 v[78:79], v[76:77], s[12:13], v[70:71] op_sel:[0,0,1] op_sel_hi:[1,0,0] neg_lo:[0,0,1] neg_hi:[0,0,1]
	v_pk_fma_f32 v[70:71], v[76:77], s[12:13], v[70:71] op_sel:[0,0,1] op_sel_hi:[1,0,0]
	v_pk_add_f32 v[50:51], v[56:57], v[50:51]
	v_mov_b32_e32 v59, v65
	v_mov_b32_e32 v76, v78
	;; [unrolled: 1-line block ×3, first 2 shown]
	v_pk_add_f32 v[50:51], v[58:59], v[50:51]
	v_mov_b32_e32 v63, v69
	v_pk_add_f32 v[54:55], v[76:77], v[54:55]
	v_pk_mul_f32 v[76:77], v[102:103], s[36:37] op_sel_hi:[1,0]
	v_pk_add_f32 v[50:51], v[62:63], v[50:51]
	v_mov_b32_e32 v67, v75
	v_pk_fma_f32 v[102:103], v[96:97], s[2:3], v[76:77] op_sel:[0,0,1] op_sel_hi:[1,0,0] neg_lo:[0,0,1] neg_hi:[0,0,1]
	v_pk_fma_f32 v[76:77], v[96:97], s[2:3], v[76:77] op_sel:[0,0,1] op_sel_hi:[1,0,0]
	v_pk_add_f32 v[50:51], v[66:67], v[50:51]
	v_mov_b32_e32 v71, v79
	v_mov_b32_e32 v96, v102
	;; [unrolled: 1-line block ×3, first 2 shown]
	v_pk_add_f32 v[50:51], v[70:71], v[50:51]
	v_mov_b32_e32 v77, v103
	v_pk_add_f32 v[54:55], v[96:97], v[54:55]
	v_pk_add_f32 v[50:51], v[76:77], v[50:51]
	v_mov_b32_e32 v187, v189
	v_mov_b32_e32 v117, v119
	ds_write2_b64 v6, v[54:55], v[50:51] offset0:8 offset1:9
	v_mov_b32_e32 v193, v195
	v_pk_add_f32 v[50:51], v[4:5], v[186:187]
	v_mov_b32_e32 v135, v157
	v_pk_add_f32 v[52:53], v[4:5], v[116:117]
	v_pk_add_f32 v[50:51], v[192:193], v[50:51]
	v_mov_b32_e32 v197, v199
	v_pk_add_f32 v[52:53], v[134:135], v[52:53]
	v_mov_b32_e32 v159, v165
	v_pk_add_f32 v[50:51], v[196:197], v[50:51]
	v_mov_b32_e32 v201, v203
	v_pk_add_f32 v[52:53], v[158:159], v[52:53]
	v_mov_b32_e32 v167, v169
	v_pk_add_f32 v[50:51], v[200:201], v[50:51]
	v_mov_b32_e32 v205, v207
	v_pk_add_f32 v[52:53], v[166:167], v[52:53]
	v_mov_b32_e32 v171, v173
	v_pk_add_f32 v[50:51], v[204:205], v[50:51]
	v_mov_b32_e32 v209, v211
	v_pk_add_f32 v[52:53], v[170:171], v[52:53]
	v_mov_b32_e32 v175, v177
	v_pk_add_f32 v[50:51], v[208:209], v[50:51]
	v_mov_b32_e32 v215, v217
	v_pk_add_f32 v[52:53], v[174:175], v[52:53]
	v_mov_b32_e32 v179, v181
	v_pk_add_f32 v[50:51], v[214:215], v[50:51]
	v_mov_b32_e32 v219, v221
	v_pk_add_f32 v[52:53], v[178:179], v[52:53]
	v_mov_b32_e32 v183, v185
	v_pk_add_f32 v[50:51], v[218:219], v[50:51]
	v_pk_add_f32 v[52:53], v[182:183], v[52:53]
	v_mov_b32_e32 v127, v125
	v_mov_b32_e32 v83, v81
	;; [unrolled: 1-line block ×3, first 2 shown]
	ds_write2_b64 v6, v[50:51], v[52:53] offset0:10 offset1:11
	ds_write2_b64 v6, v[0:1], v[2:3] offset0:12 offset1:13
	v_pk_add_f32 v[50:51], v[4:5], v[126:127]
	v_mov_b32_e32 v131, v129
	v_pk_add_f32 v[52:53], v[4:5], v[82:83]
	v_mov_b32_e32 v87, v85
	;; [unrolled: 2-line block ×21, first 2 shown]
	v_pk_add_f32 v[50:51], v[162:163], v[50:51]
	v_pk_add_f32 v[52:53], v[114:115], v[52:53]
	;; [unrolled: 1-line block ×3, first 2 shown]
	ds_write2_b64 v6, v[50:51], v[52:53] offset0:14 offset1:15
	ds_write_b64 v6, v[4:5] offset:128
.LBB0_21:
	s_or_b64 exec, exec, s[4:5]
	s_mov_b32 s2, 0xf0f1
	v_mul_u32_u24_sdwa v5, v48, s2 dst_sel:DWORD dst_unused:UNUSED_PAD src0_sel:WORD_0 src1_sel:DWORD
	v_lshrrev_b32_e32 v25, 20, v5
	v_mul_lo_u16_e32 v5, 17, v25
	v_mul_u32_u24_sdwa v4, v44, s2 dst_sel:DWORD dst_unused:UNUSED_PAD src0_sel:WORD_0 src1_sel:DWORD
	v_sub_u16_e32 v5, v48, v5
	v_lshrrev_b32_e32 v24, 20, v4
	v_lshlrev_b32_e32 v60, 3, v5
	v_mul_u32_u24_sdwa v5, v46, s2 dst_sel:DWORD dst_unused:UNUSED_PAD src0_sel:WORD_0 src1_sel:DWORD
	v_mul_lo_u16_e32 v4, 17, v24
	v_lshrrev_b32_e32 v26, 20, v5
	v_sub_u16_e32 v4, v44, v4
	v_mul_lo_u16_e32 v5, 17, v26
	v_sub_u16_e32 v5, v46, v5
	v_lshlrev_b32_e32 v48, 3, v4
	v_mul_u32_u24_sdwa v4, v42, s2 dst_sel:DWORD dst_unused:UNUSED_PAD src0_sel:WORD_0 src1_sel:DWORD
	v_lshlrev_b32_e32 v61, 3, v5
	s_movk_i32 s4, 0xf1
	v_add_u16_e32 v44, 0x77, v40
	v_lshrrev_b32_e32 v27, 20, v4
	s_waitcnt lgkmcnt(0)
	s_barrier
	global_load_dwordx2 v[8:9], v60, s[8:9]
	global_load_dwordx2 v[18:19], v61, s[8:9]
	v_mul_lo_u16_e32 v4, 17, v27
	v_mul_lo_u16_sdwa v5, v44, s4 dst_sel:DWORD dst_unused:UNUSED_PAD src0_sel:BYTE_0 src1_sel:DWORD
	v_sub_u16_e32 v4, v42, v4
	v_lshrrev_b16_e32 v42, 12, v5
	v_mul_lo_u16_e32 v5, 17, v42
	global_load_dwordx2 v[20:21], v48, s[8:9]
	v_lshlrev_b32_e32 v52, 3, v4
	global_load_dwordx2 v[22:23], v52, s[8:9]
	v_mov_b32_e32 v4, 3
	v_sub_u16_e32 v5, v44, v5
	v_lshlrev_b32_sdwa v53, v4, v5 dst_sel:DWORD dst_unused:UNUSED_PAD src0_sel:DWORD src1_sel:BYTE_0
	global_load_dwordx2 v[28:29], v53, s[8:9]
	v_mul_lo_u16_sdwa v5, v40, s4 dst_sel:DWORD dst_unused:UNUSED_PAD src0_sel:BYTE_0 src1_sel:DWORD
	v_lshrrev_b16_e32 v54, 12, v5
	v_mul_lo_u16_e32 v5, 17, v54
	v_sub_u16_e32 v5, v40, v5
	v_lshlrev_b32_sdwa v55, v4, v5 dst_sel:DWORD dst_unused:UNUSED_PAD src0_sel:DWORD src1_sel:BYTE_0
	global_load_dwordx2 v[30:31], v55, s[8:9]
	v_add_u32_e32 v4, 0x1400, v212
	v_add_u32_e32 v5, 0x2400, v212
	ds_read2_b64 v[10:13], v122 offset0:56 offset1:175
	ds_read_b64 v[32:33], v47
	ds_read_b64 v[34:35], v43
	ds_read_b64 v[46:47], v45
	ds_read_b64 v[50:51], v41
	ds_read2_b64 v[14:17], v4 offset0:74 offset1:193
	ds_read2_b64 v[4:7], v5 offset0:38 offset1:157
	s_mov_b32 s4, 0x5040100
	s_movk_i32 s2, 0x110
	v_perm_b32 v24, v24, v27, s4
	v_mul_u32_u24_e32 v45, 0x110, v54
	v_mul_u32_u24_e32 v54, 0x110, v42
	v_pk_mul_lo_u16 v42, v24, s2 op_sel_hi:[1,0]
	v_add3_u32 v45, 0, v45, v55
	v_and_b32_e32 v56, 0xfff0, v42
	v_lshrrev_b32_e32 v57, 16, v42
	v_add3_u32 v64, 0, v54, v53
	v_add3_u32 v65, 0, v56, v52
	;; [unrolled: 1-line block ×3, first 2 shown]
	s_waitcnt lgkmcnt(0)
	v_mov_b32_e32 v42, v7
	v_perm_b32 v25, v26, v25, s4
	v_pk_mul_lo_u16 v62, v25, s2 op_sel_hi:[1,0]
	v_mov_b32_e32 v24, v34
	v_mov_b32_e32 v25, v33
	;; [unrolled: 1-line block ×4, first 2 shown]
	v_and_b32_e32 v63, 0xfff0, v62
	s_movk_i32 s2, 0x55
	v_cmp_gt_u32_e32 vcc, s2, v40
	v_cmp_lt_u32_e64 s[2:3], s3, v40
	s_waitcnt vmcnt(5)
	v_mul_f32_e32 v53, v9, v5
	v_mul_f32_e32 v52, v9, v4
	s_waitcnt vmcnt(4)
	v_pk_mul_f32 v[54:55], v[6:7], v[18:19]
	v_mov_b32_e32 v48, v19
	v_fma_f32 v58, v8, v4, -v53
	v_fmac_f32_e32 v52, v8, v5
	v_mov_b32_e32 v5, v54
	v_pk_mul_f32 v[8:9], v[6:7], v[48:49]
	v_pk_fma_f32 v[6:7], v[6:7], v[18:19], v[4:5] neg_lo:[1,0,0] neg_hi:[1,0,0]
	v_pk_fma_f32 v[8:9], v[42:43], v[18:19], v[8:9]
	s_waitcnt vmcnt(3)
	v_pk_mul_f32 v[56:57], v[20:21], v[12:13] op_sel:[0,1]
	v_mov_b32_e32 v59, v8
	v_mov_b32_e32 v53, v7
	v_pk_fma_f32 v[54:55], v[20:21], v[12:13], v[56:57] op_sel:[0,0,1] op_sel_hi:[1,1,0] neg_lo:[0,0,1] neg_hi:[0,0,1]
	v_pk_fma_f32 v[12:13], v[20:21], v[12:13], v[56:57] op_sel:[0,0,1] op_sel_hi:[1,0,0]
	v_pk_add_f32 v[24:25], v[24:25], v[58:59] neg_lo:[0,1] neg_hi:[0,1]
	v_pk_add_f32 v[26:27], v[26:27], v[52:53] neg_lo:[0,1] neg_hi:[0,1]
	v_mov_b32_e32 v55, v13
	v_lshrrev_b32_e32 v6, 16, v62
	v_mov_b32_e32 v20, v24
	v_mov_b32_e32 v21, v26
	s_waitcnt vmcnt(2)
	v_pk_mul_f32 v[12:13], v[22:23], v[10:11] op_sel:[0,1]
	v_add3_u32 v48, 0, v6, v61
	v_pk_fma_f32 v[6:7], v[34:35], 2.0, v[20:21] op_sel_hi:[1,0,1] neg_lo:[0,0,1] neg_hi:[0,0,1]
	v_pk_fma_f32 v[34:35], v[22:23], v[10:11], v[12:13] op_sel:[0,0,1] op_sel_hi:[1,1,0] neg_lo:[0,0,1] neg_hi:[0,0,1]
	v_pk_fma_f32 v[10:11], v[22:23], v[10:11], v[12:13] op_sel:[0,0,1] op_sel_hi:[1,0,0]
	v_pk_add_f32 v[4:5], v[46:47], v[54:55] neg_lo:[0,1] neg_hi:[0,1]
	v_mov_b32_e32 v18, v27
	v_mov_b32_e32 v19, v25
	;; [unrolled: 1-line block ×3, first 2 shown]
	ds_read2_b64 v[10:13], v212 offset1:119
	v_pk_fma_f32 v[8:9], v[32:33], 2.0, v[18:19] op_sel_hi:[1,0,1] neg_lo:[0,0,1] neg_hi:[0,0,1]
	v_pk_fma_f32 v[32:33], v[46:47], 2.0, v[4:5] op_sel_hi:[1,0,1] neg_lo:[0,0,1] neg_hi:[0,0,1]
	v_pk_add_f32 v[22:23], v[50:51], v[34:35] neg_lo:[0,1] neg_hi:[0,1]
	s_waitcnt vmcnt(1)
	v_pk_mul_f32 v[46:47], v[28:29], v[16:17] op_sel:[0,1]
	v_pk_fma_f32 v[34:35], v[50:51], 2.0, v[22:23] op_sel_hi:[1,0,1] neg_lo:[0,0,1] neg_hi:[0,0,1]
	v_pk_fma_f32 v[50:51], v[28:29], v[16:17], v[46:47] op_sel:[0,0,1] op_sel_hi:[1,1,0] neg_lo:[0,0,1] neg_hi:[0,0,1]
	v_pk_fma_f32 v[16:17], v[28:29], v[16:17], v[46:47] op_sel:[0,0,1] op_sel_hi:[1,0,0]
	s_waitcnt vmcnt(0)
	v_pk_mul_f32 v[28:29], v[30:31], v[14:15] op_sel:[0,1]
	v_mov_b32_e32 v51, v17
	v_pk_fma_f32 v[46:47], v[30:31], v[14:15], v[28:29] op_sel:[0,0,1] op_sel_hi:[1,1,0] neg_lo:[0,0,1] neg_hi:[0,0,1]
	v_pk_fma_f32 v[14:15], v[30:31], v[14:15], v[28:29] op_sel:[0,0,1] op_sel_hi:[1,0,0]
	s_waitcnt lgkmcnt(0)
	v_pk_add_f32 v[16:17], v[12:13], v[50:51] neg_lo:[0,1] neg_hi:[0,1]
	v_mov_b32_e32 v47, v15
	v_pk_add_f32 v[14:15], v[10:11], v[46:47] neg_lo:[0,1] neg_hi:[0,1]
	v_pk_fma_f32 v[12:13], v[12:13], 2.0, v[16:17] op_sel_hi:[1,0,1] neg_lo:[0,0,1] neg_hi:[0,0,1]
	v_pk_fma_f32 v[10:11], v[10:11], 2.0, v[14:15] op_sel_hi:[1,0,1] neg_lo:[0,0,1] neg_hi:[0,0,1]
	v_add3_u32 v42, 0, v63, v60
	s_barrier
	ds_write2_b64 v45, v[10:11], v[14:15] offset1:17
	ds_write2_b64 v64, v[12:13], v[16:17] offset1:17
	;; [unrolled: 1-line block ×6, first 2 shown]
	s_waitcnt lgkmcnt(0)
	s_barrier
	ds_read2_b64 v[12:15], v212 offset1:204
	ds_read2_b64 v[16:19], v120 offset0:24 offset1:228
	ds_read2_b64 v[20:23], v49 offset0:48 offset1:252
	ds_read_b64 v[34:35], v212 offset:9792
                                        ; implicit-def: $vgpr32_vgpr33
                                        ; implicit-def: $vgpr28_vgpr29
                                        ; implicit-def: $vgpr30_vgpr31
	s_and_saveexec_b64 s[4:5], s[2:3]
	s_xor_b64 s[2:3], exec, s[4:5]
; %bb.22:
	v_mov_b32_e32 v28, v1
	v_mov_b32_e32 v29, v8
	;; [unrolled: 1-line block ×4, first 2 shown]
	v_mov_b64_e32 v[30:31], v[26:27]
; %bb.23:
	s_andn2_saveexec_b64 s[2:3], s[2:3]
	s_cbranch_execz .LBB0_25
; %bb.24:
	v_add_u32_e32 v1, 0x1000, v212
	v_add_u32_e32 v0, 0x300, v212
	ds_read2_b32 v[26:27], v1 offset0:30 offset1:31
	v_add_u32_e32 v1, 0x1600, v212
	ds_read2_b64 v[8:11], v1 offset0:27 offset1:231
	ds_read2_b64 v[4:7], v0 offset0:23 offset1:227
	v_add_u32_e32 v0, 0x2200, v212
	ds_read2_b64 v[0:3], v0 offset0:51 offset1:255
	s_waitcnt lgkmcnt(3)
	v_mov_b32_e32 v30, v27
	s_waitcnt lgkmcnt(2)
	v_mov_b32_e32 v31, v10
	v_mov_b32_e32 v24, v26
	v_mov_b32_e32 v25, v11
	s_waitcnt lgkmcnt(0)
	v_mov_b32_e32 v28, v1
	v_mov_b32_e32 v29, v8
	;; [unrolled: 1-line block ×6, first 2 shown]
.LBB0_25:
	s_or_b64 exec, exec, s[2:3]
	s_movk_i32 s3, 0xf1
	v_mul_lo_u16_sdwa v10, v40, s3 dst_sel:DWORD dst_unused:UNUSED_PAD src0_sel:BYTE_0 src1_sel:DWORD
	v_lshrrev_b16_e32 v45, 13, v10
	v_mul_lo_u16_e32 v10, 34, v45
	v_sub_u16_e32 v67, v40, v10
	v_mov_b32_e32 v11, 6
	v_mul_u32_u24_sdwa v10, v67, v11 dst_sel:DWORD dst_unused:UNUSED_PAD src0_sel:BYTE_0 src1_sel:DWORD
	v_lshlrev_b32_e32 v10, 3, v10
	global_load_dwordx4 v[46:49], v10, s[8:9] offset:136
	global_load_dwordx4 v[50:53], v10, s[8:9] offset:152
	;; [unrolled: 1-line block ×3, first 2 shown]
	v_mov_b32_e32 v10, 3
	s_waitcnt lgkmcnt(2)
	v_mov_b32_e32 v58, v17
	v_mov_b32_e32 v60, v16
	s_waitcnt lgkmcnt(1)
	v_mov_b32_e32 v61, v21
	v_mov_b32_e32 v62, v22
	;; [unrolled: 1-line block ×5, first 2 shown]
	v_mul_u32_u24_e32 v45, 0x770, v45
	v_lshlrev_b32_sdwa v67, v10, v67 dst_sel:DWORD dst_unused:UNUSED_PAD src0_sel:DWORD src1_sel:BYTE_0
	v_mov_b32_e32 v59, v20
	v_mov_b32_e32 v64, v23
	s_waitcnt lgkmcnt(0)
	v_mov_b32_e32 v66, v35
	v_add3_u32 v45, 0, v45, v67
	s_mov_b32 s4, 0x3eae86e6
	s_mov_b32 s5, 0xbf08b237
	;; [unrolled: 1-line block ×10, first 2 shown]
	s_barrier
	s_mov_b32 s14, 0x3f5ff5aa
	s_mov_b32 s18, 0x3f3bfb3b
	s_waitcnt vmcnt(2)
	v_mul_f32_e32 v76, v49, v17
	s_waitcnt vmcnt(1)
	v_mul_f32_e32 v17, v50, v19
	v_mul_f32_e32 v19, v51, v18
	;; [unrolled: 1-line block ×3, first 2 shown]
	s_waitcnt vmcnt(0)
	v_mul_f32_e32 v18, v55, v23
	v_pk_mul_f32 v[68:69], v[46:47], v[14:15] op_sel_hi:[1,0]
	v_mov_b32_e32 v71, v52
	v_mov_b32_e32 v52, v49
	;; [unrolled: 1-line block ×4, first 2 shown]
	v_mul_f32_e32 v67, v53, v20
	v_mov_b32_e32 v70, v48
	v_mov_b32_e32 v72, v54
	v_pk_mul_f32 v[74:75], v[56:57], v[34:35] op_sel_hi:[1,0]
	v_fma_f32 v18, v54, v22, -v18
	v_pk_fma_f32 v[22:23], v[46:47], v[42:43], v[68:69] op_sel:[0,0,1] op_sel_hi:[1,1,0]
	v_pk_fma_f32 v[14:15], v[46:47], v[14:15], v[68:69] op_sel:[0,1,1] op_sel_hi:[1,1,0] neg_lo:[1,0,0] neg_hi:[1,0,0]
	v_pk_mul_f32 v[46:47], v[52:53], v[60:61]
	v_pk_mul_f32 v[50:51], v[50:51], v[62:63]
	v_fma_f32 v16, v48, v16, -v76
	v_pk_fma_f32 v[52:53], v[56:57], v[66:67], v[74:75] op_sel:[0,0,1] op_sel_hi:[1,1,0]
	v_pk_fma_f32 v[34:35], v[56:57], v[34:35], v[74:75] op_sel:[0,1,1] op_sel_hi:[1,1,0] neg_lo:[1,0,0] neg_hi:[1,0,0]
	v_pk_fma_f32 v[48:49], v[48:49], v[58:59], v[46:47]
	v_pk_fma_f32 v[46:47], v[70:71], v[58:59], v[46:47] neg_lo:[0,0,1] neg_hi:[0,0,1]
	v_pk_fma_f32 v[54:55], v[54:55], v[64:65], v[50:51]
	v_pk_fma_f32 v[50:51], v[72:73], v[64:65], v[50:51] neg_lo:[0,0,1] neg_hi:[0,0,1]
	v_mov_b32_e32 v23, v15
	v_mov_b32_e32 v53, v35
	;; [unrolled: 1-line block ×6, first 2 shown]
	v_pk_add_f32 v[56:57], v[16:17], v[18:19]
	v_mov_b32_e32 v17, v18
	v_pk_add_f32 v[18:19], v[22:23], v[52:53]
	v_pk_add_f32 v[20:21], v[20:21], v[66:67]
	v_mov_b32_e32 v34, v51
	v_pk_add_f32 v[50:51], v[48:49], v[54:55]
	v_mov_b32_e32 v15, v16
	v_mov_b32_e32 v16, v57
	;; [unrolled: 1-line block ×6, first 2 shown]
	v_pk_add_f32 v[22:23], v[22:23], v[52:53] neg_lo:[0,1] neg_hi:[0,1]
	v_pk_add_f32 v[58:59], v[56:57], v[20:21]
	v_pk_add_f32 v[14:15], v[14:15], v[16:17] neg_lo:[0,1] neg_hi:[0,1]
	v_pk_add_f32 v[34:35], v[34:35], v[46:47]
	v_pk_add_f32 v[48:49], v[48:49], v[54:55] neg_lo:[0,1] neg_hi:[0,1]
	v_mov_b32_e32 v55, v23
	v_mov_b32_e32 v61, v18
	;; [unrolled: 1-line block ×7, first 2 shown]
	v_pk_add_f32 v[54:55], v[54:55], v[48:49] neg_lo:[0,1] neg_hi:[0,1]
	v_pk_add_f32 v[60:61], v[60:61], v[56:57] neg_lo:[0,1] neg_hi:[0,1]
	v_mov_b32_e32 v21, v59
	v_mov_b32_e32 v62, v34
	;; [unrolled: 1-line block ×3, first 2 shown]
	v_pk_add_f32 v[34:35], v[58:59], v[34:35]
	v_pk_add_f32 v[16:17], v[52:53], v[14:15] neg_lo:[0,1] neg_hi:[0,1]
	v_pk_add_f32 v[52:53], v[48:49], v[14:15]
	v_pk_mul_f32 v[54:55], v[54:55], s[12:13]
	v_pk_add_f32 v[62:63], v[20:21], v[62:63] neg_lo:[0,1] neg_hi:[0,1]
	v_pk_add_f32 v[12:13], v[34:35], v[12:13]
	v_pk_mul_f32 v[58:59], v[60:61], s[16:17]
	v_pk_mul_f32 v[46:47], v[16:17], s[4:5]
	v_pk_add_f32 v[52:53], v[52:53], v[22:23]
	v_pk_mul_f32 v[60:61], v[62:63], s[22:23]
	v_pk_fma_f32 v[34:35], v[34:35], s[20:21], v[12:13] op_sel_hi:[1,0,1]
	v_pk_fma_f32 v[62:63], v[62:63], s[22:23], v[58:59]
	v_pk_fma_f32 v[16:17], v[16:17], s[4:5], v[54:55]
	v_pk_add_f32 v[62:63], v[62:63], v[34:35]
	v_pk_fma_f32 v[16:17], v[52:53], s[2:3], v[16:17] op_sel_hi:[1,0,1]
	v_mov_b32_e32 v49, v15
	v_pk_add_f32 v[64:65], v[62:63], v[16:17]
	v_pk_add_f32 v[16:17], v[62:63], v[16:17] neg_lo:[0,1] neg_hi:[0,1]
	v_mov_b32_e32 v62, v64
	v_mov_b32_e32 v63, v17
	v_mov_b32_e32 v57, v50
	v_mov_b32_e32 v21, v18
	ds_write2_b64 v45, v[12:13], v[62:63] offset1:34
	v_pk_add_f32 v[12:13], v[48:49], v[22:23] neg_lo:[0,1] neg_hi:[0,1]
	v_pk_add_f32 v[14:15], v[56:57], v[20:21] neg_lo:[0,1] neg_hi:[0,1]
	v_mov_b32_e32 v18, v60
	v_mov_b32_e32 v19, v59
	;; [unrolled: 1-line block ×6, first 2 shown]
	v_pk_fma_f32 v[18:19], v[14:15], s[18:19], v[18:19] op_sel_hi:[1,0,1] neg_lo:[1,0,1] neg_hi:[1,0,1]
	v_pk_fma_f32 v[20:21], v[12:13], s[14:15], v[20:21] op_sel_hi:[1,0,1] neg_lo:[1,0,1] neg_hi:[1,0,1]
	;; [unrolled: 1-line block ×4, first 2 shown]
	v_pk_add_f32 v[18:19], v[18:19], v[34:35]
	v_pk_fma_f32 v[20:21], v[52:53], s[2:3], v[20:21] op_sel_hi:[1,0,1]
	v_pk_add_f32 v[14:15], v[14:15], v[34:35]
	v_pk_fma_f32 v[12:13], v[52:53], s[2:3], v[12:13] op_sel_hi:[1,0,1]
	v_pk_add_f32 v[22:23], v[18:19], v[20:21]
	v_pk_add_f32 v[18:19], v[18:19], v[20:21] neg_lo:[0,1] neg_hi:[0,1]
	v_pk_add_f32 v[34:35], v[14:15], v[12:13] neg_lo:[0,1] neg_hi:[0,1]
	v_pk_add_f32 v[12:13], v[14:15], v[12:13]
	v_mov_b32_e32 v20, v22
	v_mov_b32_e32 v21, v19
	;; [unrolled: 1-line block ×7, first 2 shown]
	ds_write2_b64 v45, v[20:21], v[14:15] offset0:68 offset1:102
	ds_write2_b64 v45, v[12:13], v[18:19] offset0:136 offset1:170
	ds_write_b64 v45, v[16:17] offset:1632
	s_and_saveexec_b64 s[24:25], vcc
	s_cbranch_execz .LBB0_27
; %bb.26:
	v_mul_lo_u16_sdwa v12, v44, s3 dst_sel:DWORD dst_unused:UNUSED_PAD src0_sel:BYTE_0 src1_sel:DWORD
	v_lshrrev_b16_e32 v35, 13, v12
	v_mul_lo_u16_e32 v12, 34, v35
	v_sub_u16_e32 v44, v44, v12
	v_mul_u32_u24_sdwa v11, v44, v11 dst_sel:DWORD dst_unused:UNUSED_PAD src0_sel:BYTE_0 src1_sel:DWORD
	v_lshlrev_b32_e32 v11, 3, v11
	global_load_dwordx4 v[12:15], v11, s[8:9] offset:136
	global_load_dwordx4 v[16:19], v11, s[8:9] offset:168
	;; [unrolled: 1-line block ×3, first 2 shown]
	v_mul_u32_u24_e32 v11, 0x770, v35
	v_lshlrev_b32_sdwa v10, v10, v44 dst_sel:DWORD dst_unused:UNUSED_PAD src0_sel:DWORD src1_sel:BYTE_0
	v_mov_b32_e32 v34, v7
	v_mov_b32_e32 v42, v7
	v_add3_u32 v35, 0, v11, v10
	s_waitcnt vmcnt(2)
	v_pk_mul_f32 v[6:7], v[6:7], v[12:13] op_sel_hi:[0,1]
	s_waitcnt vmcnt(1)
	v_pk_mul_f32 v[10:11], v[2:3], v[18:19] op_sel_hi:[0,1]
	v_mov_b32_e32 v46, v15
	s_waitcnt vmcnt(0)
	v_mov_b32_e32 v47, v23
	v_mov_b32_e32 v50, v17
	;; [unrolled: 1-line block ×3, first 2 shown]
	v_mul_f32_e32 v52, v26, v15
	v_mov_b32_e32 v44, v14
	v_mov_b32_e32 v45, v22
	;; [unrolled: 1-line block ×4, first 2 shown]
	v_mul_f32_e32 v53, v1, v17
	v_mul_f32_e32 v1, v8, v21
	;; [unrolled: 1-line block ×4, first 2 shown]
	v_pk_mul_f32 v[26:27], v[24:25], v[46:47]
	v_pk_mul_f32 v[32:33], v[32:33], v[50:51]
	v_fma_f32 v8, v24, v14, -v52
	v_pk_fma_f32 v[24:25], v[2:3], v[18:19], v[10:11] op_sel:[1,0,1] op_sel_hi:[1,1,0]
	v_pk_fma_f32 v[2:3], v[2:3], v[18:19], v[10:11] op_sel:[1,0,1] op_sel_hi:[1,1,0] neg_lo:[1,0,0] neg_hi:[1,0,0]
	v_pk_fma_f32 v[10:11], v[34:35], v[12:13], v[6:7] op_sel:[0,0,1] op_sel_hi:[1,1,0]
	v_pk_fma_f32 v[6:7], v[42:43], v[12:13], v[6:7] op_sel:[0,0,1] op_sel_hi:[0,1,0] neg_lo:[1,0,0] neg_hi:[1,0,0]
	v_mul_f32_e32 v9, v9, v20
	v_fma_f32 v0, v0, v16, -v53
	v_mov_b32_e32 v25, v3
	v_mov_b32_e32 v11, v7
	v_pk_fma_f32 v[16:17], v[28:29], v[16:17], v[32:33]
	v_pk_fma_f32 v[18:19], v[28:29], v[48:49], v[32:33] neg_lo:[0,0,1] neg_hi:[0,0,1]
	v_pk_fma_f32 v[14:15], v[30:31], v[14:15], v[26:27]
	v_pk_fma_f32 v[26:27], v[30:31], v[44:45], v[26:27] neg_lo:[0,0,1] neg_hi:[0,0,1]
	v_mov_b32_e32 v22, v7
	v_mov_b32_e32 v20, v3
	v_pk_add_f32 v[12:13], v[8:9], v[0:1]
	v_mov_b32_e32 v1, v8
	v_pk_add_f32 v[6:7], v[10:11], v[24:25]
	v_mov_b32_e32 v17, v19
	v_mov_b32_e32 v15, v27
	v_pk_add_f32 v[8:9], v[10:11], v[24:25] neg_lo:[0,1] neg_hi:[0,1]
	v_pk_add_f32 v[10:11], v[22:23], v[20:21]
	v_mov_b32_e32 v3, v0
	v_mov_b32_e32 v2, v13
	v_pk_add_f32 v[22:23], v[14:15], v[16:17]
	v_mov_b32_e32 v0, v11
	v_mov_b32_e32 v18, v19
	;; [unrolled: 1-line block ×4, first 2 shown]
	v_pk_add_f32 v[0:1], v[0:1], v[2:3] neg_lo:[0,1] neg_hi:[0,1]
	v_mov_b32_e32 v19, v22
	v_pk_add_f32 v[14:15], v[14:15], v[16:17] neg_lo:[0,1] neg_hi:[0,1]
	v_mov_b32_e32 v17, v9
	v_pk_add_f32 v[26:27], v[12:13], v[10:11]
	v_mov_b32_e32 v16, v0
	v_pk_add_f32 v[18:19], v[18:19], v[20:21]
	v_mov_b32_e32 v24, v8
	v_mov_b32_e32 v25, v15
	;; [unrolled: 1-line block ×4, first 2 shown]
	v_pk_add_f32 v[16:17], v[16:17], v[14:15] neg_lo:[0,1] neg_hi:[0,1]
	v_pk_add_f32 v[26:27], v[26:27], v[18:19]
	v_mov_b32_e32 v19, v22
	v_pk_add_f32 v[2:3], v[14:15], v[0:1]
	v_pk_add_f32 v[24:25], v[24:25], v[0:1] neg_lo:[0,1] neg_hi:[0,1]
	v_mov_b32_e32 v15, v1
	v_pk_mul_f32 v[0:1], v[16:17], s[12:13]
	v_pk_add_f32 v[16:17], v[10:11], v[18:19] neg_lo:[0,1] neg_hi:[0,1]
	v_mov_b32_e32 v19, v6
	v_pk_add_f32 v[2:3], v[2:3], v[8:9]
	v_pk_add_f32 v[8:9], v[14:15], v[8:9] neg_lo:[0,1] neg_hi:[0,1]
	v_pk_add_f32 v[14:15], v[18:19], v[12:13] neg_lo:[0,1] neg_hi:[0,1]
	v_pk_add_f32 v[4:5], v[4:5], v[26:27]
	v_mov_b32_e32 v11, v6
	v_mov_b32_e32 v13, v22
	v_pk_mul_f32 v[14:15], v[14:15], s[16:17]
	v_pk_mul_f32 v[20:21], v[24:25], s[4:5]
	v_pk_fma_f32 v[18:19], v[26:27], s[20:21], v[4:5] op_sel_hi:[1,0,1]
	v_pk_fma_f32 v[24:25], v[24:25], s[4:5], v[0:1]
	v_pk_add_f32 v[10:11], v[12:13], v[10:11] neg_lo:[0,1] neg_hi:[0,1]
	v_pk_fma_f32 v[12:13], v[16:17], s[22:23], v[14:15]
	v_pk_fma_f32 v[22:23], v[2:3], s[2:3], v[24:25] op_sel_hi:[1,0,1]
	v_pk_add_f32 v[12:13], v[12:13], v[18:19]
	v_pk_mul_f32 v[6:7], v[16:17], s[22:23]
	v_pk_add_f32 v[16:17], v[12:13], v[22:23]
	v_pk_add_f32 v[12:13], v[12:13], v[22:23] neg_lo:[0,1] neg_hi:[0,1]
	v_mov_b32_e32 v22, v16
	v_mov_b32_e32 v23, v13
	ds_write2_b64 v35, v[4:5], v[22:23] offset1:34
	v_mov_b32_e32 v22, v20
	v_mov_b32_e32 v23, v1
	;; [unrolled: 1-line block ×5, first 2 shown]
	v_pk_fma_f32 v[22:23], v[8:9], s[14:15], v[22:23] op_sel_hi:[1,0,1] neg_lo:[1,0,1] neg_hi:[1,0,1]
	v_pk_fma_f32 v[0:1], v[8:9], s[14:15], v[0:1] op_sel_hi:[1,0,1] neg_lo:[0,0,1] neg_hi:[0,0,1]
	v_mov_b32_e32 v15, v7
	v_pk_fma_f32 v[4:5], v[10:11], s[18:19], v[24:25] op_sel_hi:[1,0,1] neg_lo:[1,0,1] neg_hi:[1,0,1]
	v_pk_fma_f32 v[22:23], v[2:3], s[2:3], v[22:23] op_sel_hi:[1,0,1]
	v_pk_fma_f32 v[0:1], v[2:3], s[2:3], v[0:1] op_sel_hi:[1,0,1]
	v_pk_fma_f32 v[2:3], v[10:11], s[18:19], v[14:15] op_sel_hi:[1,0,1] neg_lo:[0,0,1] neg_hi:[0,0,1]
	v_pk_add_f32 v[4:5], v[4:5], v[18:19]
	v_pk_add_f32 v[2:3], v[2:3], v[18:19]
	;; [unrolled: 1-line block ×3, first 2 shown]
	v_pk_add_f32 v[4:5], v[4:5], v[22:23] neg_lo:[0,1] neg_hi:[0,1]
	v_pk_add_f32 v[6:7], v[2:3], v[0:1] neg_lo:[0,1] neg_hi:[0,1]
	v_pk_add_f32 v[0:1], v[2:3], v[0:1]
	v_mov_b32_e32 v22, v24
	v_mov_b32_e32 v23, v5
	;; [unrolled: 1-line block ×7, first 2 shown]
	ds_write2_b64 v35, v[22:23], v[2:3] offset0:68 offset1:102
	ds_write2_b64 v35, v[0:1], v[4:5] offset0:136 offset1:170
	ds_write_b64 v35, v[12:13] offset:1632
.LBB0_27:
	s_or_b64 exec, exec, s[24:25]
	v_mul_u32_u24_e32 v0, 5, v40
	v_lshlrev_b32_e32 v0, 3, v0
	v_mov_b32_e32 v1, 0
	v_lshl_add_u64 v[14:15], s[8:9], 0, v[0:1]
	s_movk_i32 s2, 0x1000
	s_waitcnt lgkmcnt(0)
	s_barrier
	global_load_dwordx4 v[2:5], v0, s[8:9] offset:1784
	global_load_dwordx2 v[34:35], v0, s[8:9] offset:1800
	v_add_co_u32_e32 v10, vcc, s2, v14
	s_mov_b64 s[2:3], 0x1980
	s_nop 0
	v_addc_co_u32_e32 v11, vcc, 0, v15, vcc
	global_load_dwordx4 v[6:9], v0, s[8:9] offset:1768
	v_lshl_add_u64 v[18:19], v[14:15], 0, s[2:3]
	global_load_dwordx4 v[10:13], v[10:11], off offset:2432
	s_nop 0
	global_load_dwordx4 v[14:17], v[18:19], off offset:16
	global_load_dwordx2 v[46:47], v[18:19], off offset:32
	ds_read_b64 v[48:49], v41
	ds_read_b64 v[50:51], v43
	v_add_u32_e32 v41, 0x1400, v212
	v_add_u32_e32 v60, 0x1c00, v212
	;; [unrolled: 1-line block ×3, first 2 shown]
	ds_read2_b64 v[18:21], v212 offset1:119
	v_add_u32_e32 v0, 0xb00, v212
	ds_read2_b64 v[22:25], v41 offset0:74 offset1:193
	ds_read2_b64 v[26:29], v60 offset0:56 offset1:175
	;; [unrolled: 1-line block ×4, first 2 shown]
	s_mov_b32 s2, 0x3f5db3d7
	s_mov_b32 s3, 0xbf5db3d7
	s_waitcnt lgkmcnt(0)
	s_barrier
	s_waitcnt vmcnt(5)
	v_pk_mul_f32 v[52:53], v[2:3], v[22:23] op_sel:[0,1]
	v_pk_mul_f32 v[54:55], v[4:5], v[26:27] op_sel:[0,1]
	s_waitcnt vmcnt(4)
	v_pk_mul_f32 v[56:57], v[34:35], v[30:31] op_sel:[0,1]
	v_pk_fma_f32 v[58:59], v[2:3], v[22:23], v[52:53] op_sel:[0,0,1] op_sel_hi:[1,1,0] neg_lo:[0,0,1] neg_hi:[0,0,1]
	v_pk_fma_f32 v[2:3], v[2:3], v[22:23], v[52:53] op_sel:[0,0,1] op_sel_hi:[1,0,0]
	v_pk_fma_f32 v[22:23], v[4:5], v[26:27], v[54:55] op_sel:[0,0,1] op_sel_hi:[1,1,0] neg_lo:[0,0,1] neg_hi:[0,0,1]
	v_pk_fma_f32 v[4:5], v[4:5], v[26:27], v[54:55] op_sel:[0,0,1] op_sel_hi:[1,0,0]
	;; [unrolled: 2-line block ×3, first 2 shown]
	s_waitcnt vmcnt(3)
	v_pk_mul_f32 v[34:35], v[6:7], v[48:49] op_sel:[0,1]
	v_pk_mul_f32 v[52:53], v[8:9], v[50:51] op_sel:[0,1]
	v_mov_b32_e32 v59, v3
	v_mov_b32_e32 v23, v5
	s_waitcnt vmcnt(2)
	v_pk_mul_f32 v[2:3], v[42:43], v[10:11] op_sel:[0,1]
	s_waitcnt vmcnt(1)
	v_pk_mul_f32 v[4:5], v[24:25], v[14:15] op_sel:[0,1]
	v_mov_b32_e32 v30, v17
	v_mov_b32_e32 v0, v13
	s_waitcnt vmcnt(0)
	v_pk_mul_f32 v[54:55], v[32:33], v[46:47] op_sel:[0,1]
	v_pk_fma_f32 v[56:57], v[6:7], v[48:49], v[34:35] op_sel:[0,0,1] op_sel_hi:[1,1,0] neg_lo:[0,0,1] neg_hi:[0,0,1]
	v_pk_fma_f32 v[6:7], v[6:7], v[48:49], v[34:35] op_sel:[0,0,1] op_sel_hi:[1,0,0]
	v_pk_fma_f32 v[34:35], v[8:9], v[50:51], v[52:53] op_sel:[0,0,1] op_sel_hi:[1,1,0] neg_lo:[0,0,1] neg_hi:[0,0,1]
	v_pk_fma_f32 v[8:9], v[8:9], v[50:51], v[52:53] op_sel:[0,0,1] op_sel_hi:[1,0,0]
	;; [unrolled: 2-line block ×4, first 2 shown]
	v_pk_mul_f32 v[14:15], v[28:29], v[30:31] op_sel_hi:[1,0]
	v_mov_b32_e32 v27, v31
	v_pk_mul_f32 v[10:11], v[44:45], v[0:1] op_sel_hi:[1,0]
	v_pk_fma_f32 v[24:25], v[32:33], v[46:47], v[54:55] op_sel:[0,0,1] op_sel_hi:[1,1,0] neg_lo:[0,0,1] neg_hi:[0,0,1]
	v_pk_fma_f32 v[30:31], v[32:33], v[46:47], v[54:55] op_sel:[0,0,1] op_sel_hi:[1,0,0]
	v_mov_b32_e32 v57, v7
	v_mov_b32_e32 v35, v9
	;; [unrolled: 1-line block ×3, first 2 shown]
	v_pk_fma_f32 v[4:5], v[28:29], v[16:17], v[14:15] op_sel:[0,0,1] op_sel_hi:[1,1,0] neg_lo:[0,0,1] neg_hi:[0,0,1]
	v_pk_fma_f32 v[8:9], v[28:29], v[16:17], v[14:15] op_sel:[0,0,1] op_sel_hi:[1,0,0]
	v_mov_b32_e32 v49, v3
	v_pk_fma_f32 v[2:3], v[44:45], v[12:13], v[10:11] op_sel:[0,0,1] op_sel_hi:[1,1,0] neg_lo:[0,0,1] neg_hi:[0,0,1]
	v_pk_fma_f32 v[6:7], v[44:45], v[12:13], v[10:11] op_sel:[0,0,1] op_sel_hi:[1,0,0]
	v_mov_b32_e32 v25, v31
	v_pk_add_f32 v[12:13], v[56:57], v[58:59]
	v_mov_b32_e32 v5, v9
	v_pk_add_f32 v[8:9], v[34:35], v[22:23]
	v_pk_add_f32 v[14:15], v[34:35], v[22:23] neg_lo:[0,1] neg_hi:[0,1]
	v_pk_add_f32 v[30:31], v[58:59], v[26:27]
	v_pk_add_f32 v[12:13], v[12:13], v[26:27]
	v_pk_fma_f32 v[8:9], v[8:9], 0.5, v[18:19] op_sel_hi:[1,0,1] neg_lo:[1,0,0] neg_hi:[1,0,0]
	v_pk_mul_f32 v[14:15], v[14:15], s[2:3] op_sel_hi:[1,0]
	v_pk_fma_f32 v[30:31], v[30:31], 0.5, v[56:57] op_sel_hi:[1,0,1] neg_lo:[1,0,0] neg_hi:[1,0,0]
	v_pk_add_f32 v[26:27], v[58:59], v[26:27] neg_lo:[0,1] neg_hi:[0,1]
	v_mov_b32_e32 v3, v7
	v_pk_add_f32 v[28:29], v[14:15], v[8:9] op_sel:[1,0] op_sel_hi:[0,1]
	v_pk_fma_f32 v[32:33], v[26:27], s[2:3], v[30:31] op_sel:[0,0,1] op_sel_hi:[1,0,0]
	v_pk_fma_f32 v[26:27], v[26:27], s[2:3], v[30:31] op_sel:[0,0,1] op_sel_hi:[1,0,0] neg_lo:[1,0,0] neg_hi:[1,0,0]
	v_pk_add_f32 v[10:11], v[18:19], v[34:35]
	v_pk_add_f32 v[6:7], v[48:49], v[42:43]
	v_pk_add_f32 v[16:17], v[20:21], v[2:3]
	v_pk_add_f32 v[8:9], v[8:9], v[14:15] op_sel:[0,1] op_sel_hi:[1,0] neg_lo:[0,1] neg_hi:[0,1]
	v_mov_b32_e32 v15, v29
	v_mov_b32_e32 v30, v32
	;; [unrolled: 1-line block ×3, first 2 shown]
	v_mul_f32_e32 v29, 0xbf5db3d7, v33
	v_pk_add_f32 v[10:11], v[10:11], v[22:23]
	v_pk_add_f32 v[6:7], v[6:7], v[24:25]
	;; [unrolled: 1-line block ×3, first 2 shown]
	v_mul_f32_e32 v0, 0x3f5db3d7, v26
	v_fmac_f32_e32 v29, 0.5, v26
	v_pk_mul_f32 v[26:27], v[30:31], 0.5 op_sel_hi:[1,0]
	v_pk_add_f32 v[18:19], v[10:11], v[12:13]
	v_pk_add_f32 v[22:23], v[16:17], v[6:7]
	v_mov_b32_e32 v14, v8
	v_pk_fma_f32 v[26:27], v[30:31], s[2:3], v[26:27] op_sel:[0,0,1] op_sel_hi:[1,1,0] neg_lo:[0,0,1] neg_hi:[0,0,1]
	v_pk_add_f32 v[10:11], v[10:11], v[12:13] neg_lo:[0,1] neg_hi:[0,1]
	v_pk_add_f32 v[30:31], v[14:15], v[26:27]
	v_pk_add_f32 v[12:13], v[14:15], v[26:27] neg_lo:[0,1] neg_hi:[0,1]
	ds_write2_b64 v212, v[18:19], v[22:23] offset1:119
	v_pk_add_f32 v[14:15], v[2:3], v[4:5]
	v_pk_add_f32 v[2:3], v[2:3], v[4:5] neg_lo:[0,1] neg_hi:[0,1]
	v_pk_add_f32 v[18:19], v[42:43], v[24:25]
	v_pk_fma_f32 v[14:15], v[14:15], 0.5, v[20:21] op_sel_hi:[1,0,1] neg_lo:[1,0,0] neg_hi:[1,0,0]
	v_pk_mul_f32 v[2:3], v[2:3], s[2:3] op_sel_hi:[1,0]
	v_pk_fma_f32 v[18:19], v[18:19], 0.5, v[48:49] op_sel_hi:[1,0,1] neg_lo:[1,0,0] neg_hi:[1,0,0]
	v_pk_add_f32 v[20:21], v[42:43], v[24:25] neg_lo:[0,1] neg_hi:[0,1]
	v_fmac_f32_e32 v0, 0.5, v33
	v_pk_add_f32 v[4:5], v[2:3], v[14:15] op_sel:[1,0] op_sel_hi:[0,1]
	v_pk_fma_f32 v[22:23], v[20:21], s[2:3], v[18:19] op_sel:[0,0,1] op_sel_hi:[1,0,0]
	v_pk_fma_f32 v[18:19], v[20:21], s[2:3], v[18:19] op_sel:[0,0,1] op_sel_hi:[1,0,0] neg_lo:[1,0,0] neg_hi:[1,0,0]
	v_add_f32_e32 v32, v28, v0
	v_sub_f32_e32 v8, v28, v0
	v_pk_add_f32 v[2:3], v[14:15], v[2:3] op_sel:[0,1] op_sel_hi:[1,0] neg_lo:[0,1] neg_hi:[0,1]
	v_mov_b32_e32 v15, v5
	v_mov_b32_e32 v20, v22
	;; [unrolled: 1-line block ×3, first 2 shown]
	v_mul_f32_e32 v0, 0x3f5db3d7, v18
	v_mul_f32_e32 v5, 0xbf5db3d7, v23
	v_fmac_f32_e32 v0, 0.5, v23
	v_fmac_f32_e32 v5, 0.5, v18
	v_pk_mul_f32 v[18:19], v[20:21], 0.5 op_sel_hi:[1,0]
	v_add_f32_e32 v33, v9, v29
	v_mov_b32_e32 v14, v2
	v_add_f32_e32 v22, v4, v0
	v_add_f32_e32 v23, v3, v5
	v_pk_fma_f32 v[18:19], v[20:21], s[2:3], v[18:19] op_sel:[0,0,1] op_sel_hi:[1,1,0] neg_lo:[0,0,1] neg_hi:[0,0,1]
	v_sub_f32_e32 v2, v4, v0
	v_add_u32_e32 v0, 0x400, v212
	v_pk_add_f32 v[20:21], v[14:15], v[18:19]
	v_sub_f32_e32 v3, v3, v5
	ds_write2_b64 v0, v[32:33], v[22:23] offset0:110 offset1:229
	v_add_u32_e32 v0, 0xc00, v212
	v_pk_add_f32 v[4:5], v[16:17], v[6:7] neg_lo:[0,1] neg_hi:[0,1]
	v_sub_f32_e32 v9, v9, v29
	ds_write2_b64 v0, v[30:31], v[20:21] offset0:92 offset1:211
	ds_write2_b64 v41, v[10:11], v[4:5] offset0:74 offset1:193
	;; [unrolled: 1-line block ×3, first 2 shown]
	v_pk_add_f32 v[2:3], v[14:15], v[18:19] neg_lo:[0,1] neg_hi:[0,1]
	ds_write2_b64 v61, v[12:13], v[2:3] offset0:38 offset1:157
	s_waitcnt lgkmcnt(0)
	s_barrier
	s_and_saveexec_b64 s[2:3], s[0:1]
	s_cbranch_execz .LBB0_29
; %bb.28:
	v_mul_lo_u32 v0, s11, v38
	v_mul_lo_u32 v2, s10, v39
	v_mad_u64_u32 v[6:7], s[0:1], s10, v38, 0
	v_lshl_add_u32 v12, v40, 3, 0
	v_add3_u32 v7, v7, v2, v0
	ds_read2_b64 v[2:5], v12 offset1:119
	v_lshl_add_u64 v[6:7], v[6:7], 3, s[6:7]
	v_mov_b32_e32 v41, v1
	v_lshl_add_u64 v[10:11], v[36:37], 3, v[6:7]
	v_lshl_add_u64 v[6:7], v[40:41], 3, v[10:11]
	s_waitcnt lgkmcnt(0)
	global_store_dwordx2 v[6:7], v[2:3], off
	v_add_u32_e32 v2, 0x400, v12
	ds_read2_b64 v[6:9], v2 offset0:110 offset1:229
	v_add_u32_e32 v0, 0x77, v40
	v_lshl_add_u64 v[2:3], v[0:1], 3, v[10:11]
	v_add_u32_e32 v0, 0xee, v40
	global_store_dwordx2 v[2:3], v[4:5], off
	v_lshl_add_u64 v[2:3], v[0:1], 3, v[10:11]
	s_waitcnt lgkmcnt(0)
	global_store_dwordx2 v[2:3], v[6:7], off
	v_add_u32_e32 v2, 0xc00, v12
	ds_read2_b64 v[2:5], v2 offset0:92 offset1:211
	v_add_u32_e32 v0, 0x165, v40
	v_lshl_add_u64 v[6:7], v[0:1], 3, v[10:11]
	v_add_u32_e32 v0, 0x1dc, v40
	global_store_dwordx2 v[6:7], v[8:9], off
	;; [unrolled: 9-line block ×5, first 2 shown]
	v_lshl_add_u64 v[2:3], v[0:1], 3, v[10:11]
	v_add_u32_e32 v0, 0x51d, v40
	v_lshl_add_u64 v[0:1], v[0:1], 3, v[10:11]
	s_waitcnt lgkmcnt(0)
	global_store_dwordx2 v[2:3], v[6:7], off
	global_store_dwordx2 v[0:1], v[8:9], off
.LBB0_29:
	s_endpgm
	.section	.rodata,"a",@progbits
	.p2align	6, 0x0
	.amdhsa_kernel fft_rtc_fwd_len1428_factors_17_2_7_6_wgs_119_tpt_119_halfLds_sp_op_CI_CI_unitstride_sbrr_C2R_dirReg
		.amdhsa_group_segment_fixed_size 0
		.amdhsa_private_segment_fixed_size 0
		.amdhsa_kernarg_size 104
		.amdhsa_user_sgpr_count 2
		.amdhsa_user_sgpr_dispatch_ptr 0
		.amdhsa_user_sgpr_queue_ptr 0
		.amdhsa_user_sgpr_kernarg_segment_ptr 1
		.amdhsa_user_sgpr_dispatch_id 0
		.amdhsa_user_sgpr_kernarg_preload_length 0
		.amdhsa_user_sgpr_kernarg_preload_offset 0
		.amdhsa_user_sgpr_private_segment_size 0
		.amdhsa_uses_dynamic_stack 0
		.amdhsa_enable_private_segment 0
		.amdhsa_system_sgpr_workgroup_id_x 1
		.amdhsa_system_sgpr_workgroup_id_y 0
		.amdhsa_system_sgpr_workgroup_id_z 0
		.amdhsa_system_sgpr_workgroup_info 0
		.amdhsa_system_vgpr_workitem_id 0
		.amdhsa_next_free_vgpr 224
		.amdhsa_next_free_sgpr 56
		.amdhsa_accum_offset 224
		.amdhsa_reserve_vcc 1
		.amdhsa_float_round_mode_32 0
		.amdhsa_float_round_mode_16_64 0
		.amdhsa_float_denorm_mode_32 3
		.amdhsa_float_denorm_mode_16_64 3
		.amdhsa_dx10_clamp 1
		.amdhsa_ieee_mode 1
		.amdhsa_fp16_overflow 0
		.amdhsa_tg_split 0
		.amdhsa_exception_fp_ieee_invalid_op 0
		.amdhsa_exception_fp_denorm_src 0
		.amdhsa_exception_fp_ieee_div_zero 0
		.amdhsa_exception_fp_ieee_overflow 0
		.amdhsa_exception_fp_ieee_underflow 0
		.amdhsa_exception_fp_ieee_inexact 0
		.amdhsa_exception_int_div_zero 0
	.end_amdhsa_kernel
	.text
.Lfunc_end0:
	.size	fft_rtc_fwd_len1428_factors_17_2_7_6_wgs_119_tpt_119_halfLds_sp_op_CI_CI_unitstride_sbrr_C2R_dirReg, .Lfunc_end0-fft_rtc_fwd_len1428_factors_17_2_7_6_wgs_119_tpt_119_halfLds_sp_op_CI_CI_unitstride_sbrr_C2R_dirReg
                                        ; -- End function
	.section	.AMDGPU.csdata,"",@progbits
; Kernel info:
; codeLenInByte = 11120
; NumSgprs: 62
; NumVgprs: 224
; NumAgprs: 0
; TotalNumVgprs: 224
; ScratchSize: 0
; MemoryBound: 0
; FloatMode: 240
; IeeeMode: 1
; LDSByteSize: 0 bytes/workgroup (compile time only)
; SGPRBlocks: 7
; VGPRBlocks: 27
; NumSGPRsForWavesPerEU: 62
; NumVGPRsForWavesPerEU: 224
; AccumOffset: 224
; Occupancy: 2
; WaveLimiterHint : 1
; COMPUTE_PGM_RSRC2:SCRATCH_EN: 0
; COMPUTE_PGM_RSRC2:USER_SGPR: 2
; COMPUTE_PGM_RSRC2:TRAP_HANDLER: 0
; COMPUTE_PGM_RSRC2:TGID_X_EN: 1
; COMPUTE_PGM_RSRC2:TGID_Y_EN: 0
; COMPUTE_PGM_RSRC2:TGID_Z_EN: 0
; COMPUTE_PGM_RSRC2:TIDIG_COMP_CNT: 0
; COMPUTE_PGM_RSRC3_GFX90A:ACCUM_OFFSET: 55
; COMPUTE_PGM_RSRC3_GFX90A:TG_SPLIT: 0
	.text
	.p2alignl 6, 3212836864
	.fill 256, 4, 3212836864
	.type	__hip_cuid_96a60b9f277e7d1b,@object ; @__hip_cuid_96a60b9f277e7d1b
	.section	.bss,"aw",@nobits
	.globl	__hip_cuid_96a60b9f277e7d1b
__hip_cuid_96a60b9f277e7d1b:
	.byte	0                               ; 0x0
	.size	__hip_cuid_96a60b9f277e7d1b, 1

	.ident	"AMD clang version 19.0.0git (https://github.com/RadeonOpenCompute/llvm-project roc-6.4.0 25133 c7fe45cf4b819c5991fe208aaa96edf142730f1d)"
	.section	".note.GNU-stack","",@progbits
	.addrsig
	.addrsig_sym __hip_cuid_96a60b9f277e7d1b
	.amdgpu_metadata
---
amdhsa.kernels:
  - .agpr_count:     0
    .args:
      - .actual_access:  read_only
        .address_space:  global
        .offset:         0
        .size:           8
        .value_kind:     global_buffer
      - .offset:         8
        .size:           8
        .value_kind:     by_value
      - .actual_access:  read_only
        .address_space:  global
        .offset:         16
        .size:           8
        .value_kind:     global_buffer
      - .actual_access:  read_only
        .address_space:  global
        .offset:         24
        .size:           8
        .value_kind:     global_buffer
      - .actual_access:  read_only
        .address_space:  global
        .offset:         32
        .size:           8
        .value_kind:     global_buffer
      - .offset:         40
        .size:           8
        .value_kind:     by_value
      - .actual_access:  read_only
        .address_space:  global
        .offset:         48
        .size:           8
        .value_kind:     global_buffer
      - .actual_access:  read_only
        .address_space:  global
        .offset:         56
        .size:           8
        .value_kind:     global_buffer
      - .offset:         64
        .size:           4
        .value_kind:     by_value
      - .actual_access:  read_only
        .address_space:  global
        .offset:         72
        .size:           8
        .value_kind:     global_buffer
      - .actual_access:  read_only
        .address_space:  global
        .offset:         80
        .size:           8
        .value_kind:     global_buffer
      - .actual_access:  read_only
        .address_space:  global
        .offset:         88
        .size:           8
        .value_kind:     global_buffer
      - .actual_access:  write_only
        .address_space:  global
        .offset:         96
        .size:           8
        .value_kind:     global_buffer
    .group_segment_fixed_size: 0
    .kernarg_segment_align: 8
    .kernarg_segment_size: 104
    .language:       OpenCL C
    .language_version:
      - 2
      - 0
    .max_flat_workgroup_size: 119
    .name:           fft_rtc_fwd_len1428_factors_17_2_7_6_wgs_119_tpt_119_halfLds_sp_op_CI_CI_unitstride_sbrr_C2R_dirReg
    .private_segment_fixed_size: 0
    .sgpr_count:     62
    .sgpr_spill_count: 0
    .symbol:         fft_rtc_fwd_len1428_factors_17_2_7_6_wgs_119_tpt_119_halfLds_sp_op_CI_CI_unitstride_sbrr_C2R_dirReg.kd
    .uniform_work_group_size: 1
    .uses_dynamic_stack: false
    .vgpr_count:     224
    .vgpr_spill_count: 0
    .wavefront_size: 64
amdhsa.target:   amdgcn-amd-amdhsa--gfx950
amdhsa.version:
  - 1
  - 2
...

	.end_amdgpu_metadata
